;; amdgpu-corpus repo=ROCm/rocFFT kind=compiled arch=gfx1030 opt=O3
	.text
	.amdgcn_target "amdgcn-amd-amdhsa--gfx1030"
	.amdhsa_code_object_version 6
	.protected	fft_rtc_back_len1690_factors_13_10_13_wgs_169_tpt_169_half_op_CI_CI_sbrr_dirReg ; -- Begin function fft_rtc_back_len1690_factors_13_10_13_wgs_169_tpt_169_half_op_CI_CI_sbrr_dirReg
	.globl	fft_rtc_back_len1690_factors_13_10_13_wgs_169_tpt_169_half_op_CI_CI_sbrr_dirReg
	.p2align	8
	.type	fft_rtc_back_len1690_factors_13_10_13_wgs_169_tpt_169_half_op_CI_CI_sbrr_dirReg,@function
fft_rtc_back_len1690_factors_13_10_13_wgs_169_tpt_169_half_op_CI_CI_sbrr_dirReg: ; @fft_rtc_back_len1690_factors_13_10_13_wgs_169_tpt_169_half_op_CI_CI_sbrr_dirReg
; %bb.0:
	s_clause 0x2
	s_load_dwordx4 s[16:19], s[4:5], 0x18
	s_load_dwordx4 s[12:15], s[4:5], 0x0
	;; [unrolled: 1-line block ×3, first 2 shown]
	v_mul_u32_u24_e32 v1, 0x184, v0
	v_mov_b32_e32 v7, 0
	v_mov_b32_e32 v5, 0
	;; [unrolled: 1-line block ×3, first 2 shown]
	s_waitcnt lgkmcnt(0)
	s_load_dwordx2 s[20:21], s[16:17], 0x0
	s_load_dwordx2 s[2:3], s[18:19], 0x0
	v_cmp_lt_u64_e64 s0, s[14:15], 2
	v_add_nc_u32_sdwa v9, s6, v1 dst_sel:DWORD dst_unused:UNUSED_PAD src0_sel:DWORD src1_sel:WORD_1
	v_mov_b32_e32 v10, v7
	s_and_b32 vcc_lo, exec_lo, s0
	s_cbranch_vccnz .LBB0_8
; %bb.1:
	s_load_dwordx2 s[0:1], s[4:5], 0x10
	v_mov_b32_e32 v5, 0
	v_mov_b32_e32 v6, 0
	s_add_u32 s6, s18, 8
	s_addc_u32 s7, s19, 0
	v_mov_b32_e32 v1, v5
	s_add_u32 s22, s16, 8
	v_mov_b32_e32 v2, v6
	s_addc_u32 s23, s17, 0
	s_mov_b64 s[26:27], 1
	s_waitcnt lgkmcnt(0)
	s_add_u32 s24, s0, 8
	s_addc_u32 s25, s1, 0
.LBB0_2:                                ; =>This Inner Loop Header: Depth=1
	s_load_dwordx2 s[28:29], s[24:25], 0x0
                                        ; implicit-def: $vgpr3_vgpr4
	s_mov_b32 s0, exec_lo
	s_waitcnt lgkmcnt(0)
	v_or_b32_e32 v8, s29, v10
	v_cmpx_ne_u64_e32 0, v[7:8]
	s_xor_b32 s1, exec_lo, s0
	s_cbranch_execz .LBB0_4
; %bb.3:                                ;   in Loop: Header=BB0_2 Depth=1
	v_cvt_f32_u32_e32 v3, s28
	v_cvt_f32_u32_e32 v4, s29
	s_sub_u32 s0, 0, s28
	s_subb_u32 s30, 0, s29
	v_fmac_f32_e32 v3, 0x4f800000, v4
	v_rcp_f32_e32 v3, v3
	v_mul_f32_e32 v3, 0x5f7ffffc, v3
	v_mul_f32_e32 v4, 0x2f800000, v3
	v_trunc_f32_e32 v4, v4
	v_fmac_f32_e32 v3, 0xcf800000, v4
	v_cvt_u32_f32_e32 v4, v4
	v_cvt_u32_f32_e32 v3, v3
	v_mul_lo_u32 v8, s0, v4
	v_mul_hi_u32 v11, s0, v3
	v_mul_lo_u32 v12, s30, v3
	v_add_nc_u32_e32 v8, v11, v8
	v_mul_lo_u32 v11, s0, v3
	v_add_nc_u32_e32 v8, v8, v12
	v_mul_hi_u32 v12, v3, v11
	v_mul_lo_u32 v13, v3, v8
	v_mul_hi_u32 v14, v3, v8
	v_mul_hi_u32 v15, v4, v11
	v_mul_lo_u32 v11, v4, v11
	v_mul_hi_u32 v16, v4, v8
	v_mul_lo_u32 v8, v4, v8
	v_add_co_u32 v12, vcc_lo, v12, v13
	v_add_co_ci_u32_e32 v13, vcc_lo, 0, v14, vcc_lo
	v_add_co_u32 v11, vcc_lo, v12, v11
	v_add_co_ci_u32_e32 v11, vcc_lo, v13, v15, vcc_lo
	v_add_co_ci_u32_e32 v12, vcc_lo, 0, v16, vcc_lo
	v_add_co_u32 v8, vcc_lo, v11, v8
	v_add_co_ci_u32_e32 v11, vcc_lo, 0, v12, vcc_lo
	v_add_co_u32 v3, vcc_lo, v3, v8
	v_add_co_ci_u32_e32 v4, vcc_lo, v4, v11, vcc_lo
	v_mul_hi_u32 v8, s0, v3
	v_mul_lo_u32 v12, s30, v3
	v_mul_lo_u32 v11, s0, v4
	v_add_nc_u32_e32 v8, v8, v11
	v_mul_lo_u32 v11, s0, v3
	v_add_nc_u32_e32 v8, v8, v12
	v_mul_hi_u32 v12, v3, v11
	v_mul_lo_u32 v13, v3, v8
	v_mul_hi_u32 v14, v3, v8
	v_mul_hi_u32 v15, v4, v11
	v_mul_lo_u32 v11, v4, v11
	v_mul_hi_u32 v16, v4, v8
	v_mul_lo_u32 v8, v4, v8
	v_add_co_u32 v12, vcc_lo, v12, v13
	v_add_co_ci_u32_e32 v13, vcc_lo, 0, v14, vcc_lo
	v_add_co_u32 v11, vcc_lo, v12, v11
	v_add_co_ci_u32_e32 v11, vcc_lo, v13, v15, vcc_lo
	v_add_co_ci_u32_e32 v12, vcc_lo, 0, v16, vcc_lo
	v_add_co_u32 v8, vcc_lo, v11, v8
	v_add_co_ci_u32_e32 v11, vcc_lo, 0, v12, vcc_lo
	v_add_co_u32 v8, vcc_lo, v3, v8
	v_add_co_ci_u32_e32 v13, vcc_lo, v4, v11, vcc_lo
	v_mul_hi_u32 v15, v9, v8
	v_mad_u64_u32 v[11:12], null, v10, v8, 0
	v_mad_u64_u32 v[3:4], null, v9, v13, 0
	v_mad_u64_u32 v[13:14], null, v10, v13, 0
	v_add_co_u32 v3, vcc_lo, v15, v3
	v_add_co_ci_u32_e32 v4, vcc_lo, 0, v4, vcc_lo
	v_add_co_u32 v3, vcc_lo, v3, v11
	v_add_co_ci_u32_e32 v3, vcc_lo, v4, v12, vcc_lo
	v_add_co_ci_u32_e32 v4, vcc_lo, 0, v14, vcc_lo
	v_add_co_u32 v8, vcc_lo, v3, v13
	v_add_co_ci_u32_e32 v11, vcc_lo, 0, v4, vcc_lo
	v_mul_lo_u32 v12, s29, v8
	v_mad_u64_u32 v[3:4], null, s28, v8, 0
	v_mul_lo_u32 v13, s28, v11
	v_sub_co_u32 v3, vcc_lo, v9, v3
	v_add3_u32 v4, v4, v13, v12
	v_sub_nc_u32_e32 v12, v10, v4
	v_subrev_co_ci_u32_e64 v12, s0, s29, v12, vcc_lo
	v_add_co_u32 v13, s0, v8, 2
	v_add_co_ci_u32_e64 v14, s0, 0, v11, s0
	v_sub_co_u32 v15, s0, v3, s28
	v_sub_co_ci_u32_e32 v4, vcc_lo, v10, v4, vcc_lo
	v_subrev_co_ci_u32_e64 v12, s0, 0, v12, s0
	v_cmp_le_u32_e32 vcc_lo, s28, v15
	v_cmp_eq_u32_e64 s0, s29, v4
	v_cndmask_b32_e64 v15, 0, -1, vcc_lo
	v_cmp_le_u32_e32 vcc_lo, s29, v12
	v_cndmask_b32_e64 v16, 0, -1, vcc_lo
	v_cmp_le_u32_e32 vcc_lo, s28, v3
	;; [unrolled: 2-line block ×3, first 2 shown]
	v_cndmask_b32_e64 v17, 0, -1, vcc_lo
	v_cmp_eq_u32_e32 vcc_lo, s29, v12
	v_cndmask_b32_e64 v3, v17, v3, s0
	v_cndmask_b32_e32 v12, v16, v15, vcc_lo
	v_add_co_u32 v15, vcc_lo, v8, 1
	v_add_co_ci_u32_e32 v16, vcc_lo, 0, v11, vcc_lo
	v_cmp_ne_u32_e32 vcc_lo, 0, v12
	v_cndmask_b32_e32 v4, v16, v14, vcc_lo
	v_cndmask_b32_e32 v12, v15, v13, vcc_lo
	v_cmp_ne_u32_e32 vcc_lo, 0, v3
	v_cndmask_b32_e32 v4, v11, v4, vcc_lo
	v_cndmask_b32_e32 v3, v8, v12, vcc_lo
.LBB0_4:                                ;   in Loop: Header=BB0_2 Depth=1
	s_andn2_saveexec_b32 s0, s1
	s_cbranch_execz .LBB0_6
; %bb.5:                                ;   in Loop: Header=BB0_2 Depth=1
	v_cvt_f32_u32_e32 v3, s28
	s_sub_i32 s1, 0, s28
	v_rcp_iflag_f32_e32 v3, v3
	v_mul_f32_e32 v3, 0x4f7ffffe, v3
	v_cvt_u32_f32_e32 v3, v3
	v_mul_lo_u32 v4, s1, v3
	v_mul_hi_u32 v4, v3, v4
	v_add_nc_u32_e32 v3, v3, v4
	v_mul_hi_u32 v3, v9, v3
	v_mul_lo_u32 v4, v3, s28
	v_add_nc_u32_e32 v8, 1, v3
	v_sub_nc_u32_e32 v4, v9, v4
	v_subrev_nc_u32_e32 v11, s28, v4
	v_cmp_le_u32_e32 vcc_lo, s28, v4
	v_cndmask_b32_e32 v4, v4, v11, vcc_lo
	v_cndmask_b32_e32 v3, v3, v8, vcc_lo
	v_cmp_le_u32_e32 vcc_lo, s28, v4
	v_add_nc_u32_e32 v8, 1, v3
	v_mov_b32_e32 v4, v7
	v_cndmask_b32_e32 v3, v3, v8, vcc_lo
.LBB0_6:                                ;   in Loop: Header=BB0_2 Depth=1
	s_or_b32 exec_lo, exec_lo, s0
	v_mul_lo_u32 v8, v4, s28
	v_mul_lo_u32 v13, v3, s29
	s_load_dwordx2 s[0:1], s[22:23], 0x0
	v_mad_u64_u32 v[11:12], null, v3, s28, 0
	s_load_dwordx2 s[28:29], s[6:7], 0x0
	s_add_u32 s26, s26, 1
	s_addc_u32 s27, s27, 0
	s_add_u32 s6, s6, 8
	s_addc_u32 s7, s7, 0
	s_add_u32 s22, s22, 8
	v_add3_u32 v8, v12, v13, v8
	v_sub_co_u32 v9, vcc_lo, v9, v11
	s_addc_u32 s23, s23, 0
	s_add_u32 s24, s24, 8
	v_sub_co_ci_u32_e32 v8, vcc_lo, v10, v8, vcc_lo
	s_addc_u32 s25, s25, 0
	s_waitcnt lgkmcnt(0)
	v_mul_lo_u32 v10, s0, v8
	v_mul_lo_u32 v11, s1, v9
	v_mad_u64_u32 v[5:6], null, s0, v9, v[5:6]
	v_mul_lo_u32 v8, s28, v8
	v_mul_lo_u32 v12, s29, v9
	v_mad_u64_u32 v[1:2], null, s28, v9, v[1:2]
	v_cmp_ge_u64_e64 s0, s[26:27], s[14:15]
	v_add3_u32 v6, v11, v6, v10
	v_add3_u32 v2, v12, v2, v8
	s_and_b32 vcc_lo, exec_lo, s0
	s_cbranch_vccnz .LBB0_9
; %bb.7:                                ;   in Loop: Header=BB0_2 Depth=1
	v_mov_b32_e32 v10, v4
	v_mov_b32_e32 v9, v3
	s_branch .LBB0_2
.LBB0_8:
	v_mov_b32_e32 v1, v5
	v_mov_b32_e32 v3, v9
	;; [unrolled: 1-line block ×4, first 2 shown]
.LBB0_9:
	s_load_dwordx2 s[0:1], s[4:5], 0x28
	v_mul_hi_u32 v7, 0x183c978, v0
	s_lshl_b64 s[6:7], s[14:15], 3
                                        ; implicit-def: $vgpr36
                                        ; implicit-def: $vgpr8
                                        ; implicit-def: $vgpr35
                                        ; implicit-def: $vgpr9
                                        ; implicit-def: $vgpr33
                                        ; implicit-def: $vgpr10
                                        ; implicit-def: $vgpr16
                                        ; implicit-def: $vgpr11
                                        ; implicit-def: $vgpr15
                                        ; implicit-def: $vgpr12
                                        ; implicit-def: $vgpr14
                                        ; implicit-def: $vgpr13
	s_add_u32 s4, s18, s6
	s_addc_u32 s5, s19, s7
	v_mul_u32_u24_e32 v7, 0xa9, v7
	v_sub_nc_u32_e32 v28, v0, v7
	v_mov_b32_e32 v7, 0
	v_cmp_gt_u32_e32 vcc_lo, 0x82, v28
	s_waitcnt lgkmcnt(0)
	v_cmp_gt_u64_e64 s0, s[0:1], v[3:4]
	v_add_nc_u32_e32 v27, 0x82, v28
	v_add_nc_u32_e32 v26, 0x104, v28
	;; [unrolled: 1-line block ×12, first 2 shown]
	s_and_b32 s14, s0, vcc_lo
	s_and_saveexec_b32 s1, s14
	s_cbranch_execz .LBB0_11
; %bb.10:
	s_add_u32 s6, s16, s6
	s_addc_u32 s7, s17, s7
	v_mad_u64_u32 v[7:8], null, s20, v28, 0
	s_load_dwordx2 s[6:7], s[6:7], 0x0
	v_mad_u64_u32 v[9:10], null, s20, v27, 0
	v_mad_u64_u32 v[11:12], null, s20, v26, 0
	;; [unrolled: 1-line block ×3, first 2 shown]
	v_lshlrev_b64 v[5:6], 2, v[5:6]
	v_mad_u64_u32 v[39:40], null, s20, v18, 0
	v_mad_u64_u32 v[29:30], null, s21, v28, v[8:9]
	;; [unrolled: 1-line block ×5, first 2 shown]
	v_mov_b32_e32 v8, v29
	s_waitcnt lgkmcnt(0)
	v_mul_lo_u32 v32, s7, v3
	v_mul_lo_u32 v33, s6, v4
	v_mad_u64_u32 v[15:16], null, s6, v3, 0
	v_mov_b32_e32 v10, v30
	v_lshlrev_b64 v[7:8], 2, v[7:8]
	v_add3_u32 v16, v16, v33, v32
	v_mad_u64_u32 v[31:32], null, s21, v26, v[12:13]
	v_mad_u64_u32 v[32:33], null, s20, v24, 0
	v_lshlrev_b64 v[15:16], 2, v[15:16]
	v_mov_b32_e32 v12, v31
	v_mad_u64_u32 v[34:35], null, s21, v25, v[14:15]
	v_add_co_u32 v14, s0, s8, v15
	v_add_co_ci_u32_e64 v15, s0, s9, v16, s0
	v_mad_u64_u32 v[35:36], null, s20, v20, 0
	v_add_co_u32 v49, s0, v14, v5
	v_add_co_ci_u32_e64 v50, s0, v15, v6, s0
	v_lshlrev_b64 v[5:6], 2, v[9:10]
	v_lshlrev_b64 v[10:11], 2, v[11:12]
	v_add_co_u32 v7, s0, v49, v7
	v_mov_b32_e32 v9, v33
	v_mad_u64_u32 v[15:16], null, s20, v23, 0
	v_add_co_ci_u32_e64 v8, s0, v50, v8, s0
	v_add_co_u32 v5, s0, v49, v5
	v_mov_b32_e32 v14, v34
	v_add_co_ci_u32_e64 v6, s0, v50, v6, s0
	v_mad_u64_u32 v[29:30], null, s21, v24, v[9:10]
	v_add_co_u32 v9, s0, v49, v10
	v_add_co_ci_u32_e64 v10, s0, v50, v11, s0
	v_lshlrev_b64 v[11:12], 2, v[13:14]
	v_mov_b32_e32 v13, v16
	v_mov_b32_e32 v33, v29
	v_mad_u64_u32 v[29:30], null, s20, v22, 0
	v_mad_u64_u32 v[13:14], null, s21, v23, v[13:14]
	v_lshlrev_b64 v[31:32], 2, v[32:33]
	v_mad_u64_u32 v[33:34], null, s20, v21, 0
	v_mov_b32_e32 v14, v30
	v_add_co_u32 v11, s0, v49, v11
	v_mov_b32_e32 v16, v13
	v_add_co_ci_u32_e64 v12, s0, v50, v12, s0
	v_mad_u64_u32 v[13:14], null, s21, v22, v[14:15]
	v_lshlrev_b64 v[15:16], 2, v[15:16]
	v_mov_b32_e32 v14, v34
	v_add_co_u32 v31, s0, v49, v31
	v_add_co_ci_u32_e64 v32, s0, v50, v32, s0
	v_mad_u64_u32 v[37:38], null, s21, v21, v[14:15]
	v_mov_b32_e32 v30, v13
	v_add_co_u32 v13, s0, v49, v15
	v_add_co_ci_u32_e64 v14, s0, v50, v16, s0
	v_lshlrev_b64 v[15:16], 2, v[29:30]
	v_mov_b32_e32 v29, v36
	v_mov_b32_e32 v34, v37
	v_mad_u64_u32 v[37:38], null, s20, v19, 0
	v_mad_u64_u32 v[29:30], null, s21, v20, v[29:30]
	v_add_co_u32 v41, s0, v49, v15
	v_add_co_ci_u32_e64 v42, s0, v50, v16, s0
	v_mov_b32_e32 v15, v38
	v_mov_b32_e32 v16, v40
	;; [unrolled: 1-line block ×3, first 2 shown]
	v_lshlrev_b64 v[33:34], 2, v[33:34]
	v_mad_u64_u32 v[29:30], null, s21, v19, v[15:16]
	v_mad_u64_u32 v[15:16], null, s21, v18, v[16:17]
	v_mov_b32_e32 v16, v44
	v_add_co_u32 v47, s0, v49, v33
	v_add_co_ci_u32_e64 v48, s0, v50, v34, s0
	v_lshlrev_b64 v[33:34], 2, v[35:36]
	v_mov_b32_e32 v40, v15
	v_mad_u64_u32 v[15:16], null, s21, v17, v[16:17]
	v_mov_b32_e32 v16, v46
	v_mov_b32_e32 v38, v29
	v_add_co_u32 v29, s0, v49, v33
	v_add_co_ci_u32_e64 v30, s0, v50, v34, s0
	v_mad_u64_u32 v[35:36], null, s21, v0, v[16:17]
	v_lshlrev_b64 v[33:34], 2, v[37:38]
	v_mov_b32_e32 v44, v15
	v_lshlrev_b64 v[36:37], 2, v[39:40]
	v_mov_b32_e32 v46, v35
	v_add_co_u32 v38, s0, v49, v33
	v_lshlrev_b64 v[15:16], 2, v[43:44]
	v_add_co_ci_u32_e64 v39, s0, v50, v34, s0
	v_add_co_u32 v43, s0, v49, v36
	v_lshlrev_b64 v[33:34], 2, v[45:46]
	v_add_co_ci_u32_e64 v44, s0, v50, v37, s0
	v_add_co_u32 v45, s0, v49, v15
	v_add_co_ci_u32_e64 v46, s0, v50, v16, s0
	v_add_co_u32 v49, s0, v49, v33
	v_add_co_ci_u32_e64 v50, s0, v50, v34, s0
	s_clause 0xc
	global_load_dword v7, v[7:8], off
	global_load_dword v36, v[5:6], off
	;; [unrolled: 1-line block ×13, first 2 shown]
.LBB0_11:
	s_or_b32 exec_lo, exec_lo, s1
	s_waitcnt vmcnt(0)
	v_pk_add_f16 v80, v36, v8 neg_lo:[0,1] neg_hi:[0,1]
	v_pk_add_f16 v34, v36, v8
	v_pk_add_f16 v89, v35, v9 neg_lo:[0,1] neg_hi:[0,1]
	v_pk_add_f16 v37, v35, v9
	v_pk_add_f16 v94, v33, v10 neg_lo:[0,1] neg_hi:[0,1]
	v_lshrrev_b32_e32 v52, 16, v80
	v_lshrrev_b32_e32 v43, 16, v34
	v_mul_f16_e32 v77, 0xba95, v80
	v_lshrrev_b32_e32 v51, 16, v89
	v_lshrrev_b32_e32 v54, 16, v94
	v_mul_f16_e32 v45, 0xb770, v52
	v_mul_f16_e32 v82, 0xbbf1, v52
	;; [unrolled: 1-line block ×3, first 2 shown]
	v_fmamk_f16 v6, v43, 0x388b, v77
	v_mul_f16_e32 v44, 0xba95, v51
	v_fma_f16 v29, v34, 0x3b15, -v45
	v_fma_f16 v31, v34, 0x2fb7, -v82
	v_fma_f16 v30, v34, 0x388b, -v66
	v_add_f16_sdwa v32, v7, v6 dst_sel:DWORD dst_unused:UNUSED_PAD src0_sel:WORD_1 src1_sel:DWORD
	v_mul_f16_e32 v72, 0xbb7b, v51
	v_add_f16_e32 v29, v7, v29
	v_add_f16_e32 v6, v7, v31
	v_fma_f16 v31, v37, 0x388b, -v44
	v_mul_f16_e32 v83, 0xb3a8, v51
	v_pk_add_f16 v95, v16, v11 neg_lo:[0,1] neg_hi:[0,1]
	v_add_f16_e32 v30, v7, v30
	v_pk_add_f16 v38, v33, v10
	v_add_f16_e32 v29, v29, v31
	v_fma_f16 v31, v37, 0xb5ac, -v72
	v_fma_f16 v39, v37, 0xbbc4, -v83
	v_mul_f16_e32 v75, 0xb3a8, v54
	v_mul_f16_e32 v84, 0x3b7b, v54
	v_lshrrev_b32_e32 v60, 16, v95
	v_pk_add_f16 v98, v15, v12 neg_lo:[0,1] neg_hi:[0,1]
	v_add_f16_e32 v30, v30, v31
	v_add_f16_e32 v6, v6, v39
	v_fma_f16 v31, v38, 0xbbc4, -v75
	v_fma_f16 v41, v38, 0xb5ac, -v84
	v_pk_add_f16 v39, v16, v11
	v_mul_f16_e32 v76, 0x394e, v60
	v_mul_f16_e32 v85, 0x3770, v60
	v_lshrrev_b32_e32 v64, 16, v98
	v_mul_f16_e32 v47, 0xb770, v80
	v_add_f16_e32 v30, v30, v31
	v_add_f16_e32 v6, v6, v41
	v_fma_f16 v31, v39, 0xb9fd, -v76
	v_fma_f16 v42, v39, 0x3b15, -v85
	v_pk_add_f16 v99, v14, v13 neg_lo:[0,1] neg_hi:[0,1]
	v_pk_add_f16 v41, v15, v12
	v_mul_f16_e32 v79, 0x3bf1, v64
	v_mul_f16_e32 v87, 0xba95, v64
	v_fmamk_f16 v5, v43, 0x3b15, v47
	v_mul_f16_e32 v81, 0xbbf1, v80
	v_lshrrev_b32_e32 v40, 16, v37
	v_mul_f16_e32 v49, 0xba95, v89
	v_add_f16_e32 v30, v30, v31
	v_lshrrev_b32_e32 v70, 16, v99
	v_add_f16_e32 v6, v6, v42
	v_fma_f16 v31, v41, 0x2fb7, -v79
	v_fma_f16 v46, v41, 0x388b, -v87
	v_add_f16_sdwa v5, v7, v5 dst_sel:DWORD dst_unused:UNUSED_PAD src0_sel:WORD_1 src1_sel:DWORD
	v_pk_add_f16 v42, v14, v13
	v_mul_f16_e32 v78, 0x3770, v70
	v_fmamk_f16 v48, v40, 0x388b, v49
	v_add_f16_e32 v30, v30, v31
	v_add_f16_e32 v31, v6, v46
	v_mul_f16_e32 v93, 0xbb7b, v89
	v_fmamk_f16 v46, v43, 0x2fb7, v81
	v_mul_f16_e32 v96, 0xb3a8, v89
	v_fma_f16 v6, v42, 0x3b15, -v78
	v_add_f16_e32 v5, v5, v48
	v_fmamk_f16 v48, v40, 0xb5ac, v93
	v_add_f16_sdwa v50, v7, v46 dst_sel:DWORD dst_unused:UNUSED_PAD src0_sel:WORD_1 src1_sel:DWORD
	v_fmamk_f16 v53, v40, 0xbbc4, v96
	v_lshrrev_b32_e32 v46, 16, v38
	v_mul_f16_e32 v67, 0xbbf1, v94
	v_mul_f16_e32 v63, 0xbbf1, v54
	v_add_f16_e32 v6, v30, v6
	v_add_f16_e32 v30, v32, v48
	;; [unrolled: 1-line block ×3, first 2 shown]
	v_fmamk_f16 v50, v46, 0x2fb7, v67
	v_mul_f16_e32 v91, 0xb3a8, v94
	v_mul_f16_e32 v97, 0x3b7b, v94
	v_fma_f16 v56, v38, 0x2fb7, -v63
	v_mul_f16_e32 v65, 0xbb7b, v60
	v_lshrrev_b32_e32 v48, 16, v39
	v_mul_f16_e32 v68, 0xbb7b, v95
	v_add_f16_e32 v5, v5, v50
	v_fmamk_f16 v50, v46, 0xbbc4, v91
	v_fmamk_f16 v53, v46, 0xb5ac, v97
	v_mul_f16_e32 v92, 0x394e, v95
	v_add_f16_e32 v29, v29, v56
	v_fma_f16 v56, v39, 0xb5ac, -v65
	v_fmamk_f16 v57, v48, 0xb5ac, v68
	v_add_f16_e32 v30, v30, v50
	v_add_f16_e32 v32, v32, v53
	v_fmamk_f16 v53, v48, 0xb9fd, v92
	v_mul_f16_e32 v100, 0x3770, v95
	v_mul_f16_e32 v69, 0xb94e, v64
	v_lshrrev_b32_e32 v50, 16, v41
	v_mul_f16_e32 v71, 0xb94e, v98
	v_add_f16_e32 v29, v29, v56
	v_add_f16_e32 v5, v5, v57
	v_mul_f16_e32 v90, 0x3bf1, v98
	v_add_f16_e32 v30, v30, v53
	v_fmamk_f16 v53, v48, 0x3b15, v100
	v_fma_f16 v56, v41, 0xb9fd, -v69
	v_fmamk_f16 v57, v50, 0xb9fd, v71
	v_mul_f16_e32 v101, 0xba95, v98
	v_mul_f16_e32 v88, 0xb94e, v70
	v_fmamk_f16 v58, v50, 0x2fb7, v90
	v_add_f16_e32 v32, v32, v53
	v_add_f16_e32 v29, v29, v56
	;; [unrolled: 1-line block ×3, first 2 shown]
	v_fmamk_f16 v5, v50, 0x388b, v101
	v_mul_f16_e32 v73, 0xb3a8, v70
	v_lshrrev_b32_e32 v53, 16, v42
	v_mul_f16_e32 v74, 0xb3a8, v99
	v_mul_f16_e32 v86, 0x3770, v99
	v_mul_f16_e32 v102, 0xb94e, v99
	v_fma_f16 v55, v42, 0xb9fd, -v88
	v_add_f16_e32 v30, v30, v58
	v_add_f16_e32 v57, v32, v5
	v_fma_f16 v32, v42, 0xbbc4, -v73
	v_fmamk_f16 v58, v53, 0xbbc4, v74
	v_fmamk_f16 v59, v53, 0x3b15, v86
	;; [unrolled: 1-line block ×3, first 2 shown]
	v_add_f16_e32 v5, v31, v55
	v_add_f16_e32 v29, v29, v32
	;; [unrolled: 1-line block ×5, first 2 shown]
	s_and_saveexec_b32 s0, vcc_lo
	s_cbranch_execz .LBB0_13
; %bb.12:
	v_pk_mul_f16 v57, 0xbbc4, v34 op_sel_hi:[0,1]
	v_pk_mul_f16 v56, 0xb3a8, v80 op_sel_hi:[0,1]
	;; [unrolled: 1-line block ×5, first 2 shown]
	v_mul_f16_e32 v107, 0xb94e, v80
	v_add_f16_sdwa v57, v56, v57 dst_sel:DWORD dst_unused:UNUSED_PAD src0_sel:WORD_1 src1_sel:DWORD
	v_pk_mul_f16 v106, 0x388b, v39 op_sel_hi:[0,1]
	v_add_f16_sdwa v61, v55, v58 dst_sel:DWORD dst_unused:UNUSED_PAD src0_sel:WORD_1 src1_sel:DWORD
	v_pk_mul_f16 v58, 0xb94e, v94 op_sel_hi:[0,1]
	v_fma_f16 v109, v43, 0xb9fd, -v107
	v_add_f16_e32 v62, v7, v57
	v_pk_mul_f16 v57, 0x3a95, v95 op_sel_hi:[0,1]
	v_mul_f16_e32 v110, 0x3bf1, v89
	v_pk_mul_f16 v108, 0xb5ac, v41 op_sel_hi:[0,1]
	v_add_f16_sdwa v109, v7, v109 dst_sel:DWORD dst_unused:UNUSED_PAD src0_sel:WORD_1 src1_sel:DWORD
	v_add_f16_e32 v61, v62, v61
	v_add_f16_sdwa v62, v58, v59 dst_sel:DWORD dst_unused:UNUSED_PAD src0_sel:WORD_1 src1_sel:DWORD
	v_pk_mul_f16 v59, 0xbb7b, v98 op_sel_hi:[0,1]
	v_fma_f16 v111, v40, 0x2fb7, -v110
	v_mul_f16_e32 v112, 0xba95, v94
	v_mul_f16_e32 v113, 0x33a8, v95
	v_add_f16_e32 v61, v61, v62
	v_add_f16_sdwa v62, v57, v106 dst_sel:DWORD dst_unused:UNUSED_PAD src0_sel:WORD_1 src1_sel:DWORD
	v_pk_mul_f16 v106, 0x2fb7, v42 op_sel_hi:[0,1]
	v_add_f16_sdwa v108, v59, v108 dst_sel:DWORD dst_unused:UNUSED_PAD src0_sel:WORD_1 src1_sel:DWORD
	v_add_f16_e32 v109, v109, v111
	v_fma_f16 v111, v46, 0x388b, -v112
	v_add_f16_e32 v62, v61, v62
	v_pk_mul_f16 v61, 0x3bf1, v99 op_sel_hi:[0,1]
	v_mul_f16_e32 v114, 0x3770, v98
	v_mul_f16_e32 v115, 0x2fb7, v37
	v_add_f16_e32 v109, v109, v111
	v_add_f16_e32 v62, v62, v108
	v_add_f16_sdwa v106, v61, v106 dst_sel:DWORD dst_unused:UNUSED_PAD src0_sel:WORD_1 src1_sel:DWORD
	v_mul_f16_e32 v108, 0xb9fd, v34
	v_fma_f16 v111, v48, 0xbbc4, -v113
	v_mul_f16_e32 v116, 0xbb7b, v80
	v_mul_f16_e32 v117, 0x388b, v38
	v_add_f16_e32 v62, v62, v106
	v_fmamk_f16 v106, v52, 0xb94e, v108
	v_add_f16_e32 v109, v109, v111
	v_fma_f16 v111, v50, 0x3b15, -v114
	v_mul_f16_e32 v89, 0x394e, v89
	v_mul_f16_e32 v118, 0xbbc4, v39
	v_add_f16_e32 v80, v7, v106
	v_fmamk_f16 v106, v51, 0x3bf1, v115
	v_add_f16_e32 v109, v109, v111
	v_fma_f16 v111, v43, 0xb5ac, -v116
	v_fma_f16 v119, v40, 0xb9fd, -v89
	v_mul_f16_e32 v94, 0x3770, v94
	v_add_f16_e32 v80, v80, v106
	v_fmamk_f16 v106, v54, 0xba95, v117
	v_add_f16_sdwa v111, v7, v111 dst_sel:DWORD dst_unused:UNUSED_PAD src0_sel:WORD_1 src1_sel:DWORD
	v_mul_f16_e32 v120, 0x3b15, v41
	v_mul_f16_e32 v95, 0xbbf1, v95
	;; [unrolled: 1-line block ×3, first 2 shown]
	v_add_f16_e32 v80, v80, v106
	v_fmamk_f16 v106, v60, 0x33a8, v118
	v_add_f16_e32 v111, v111, v119
	v_fma_f16 v119, v46, 0x3b15, -v94
	v_mul_f16_e32 v98, 0x33a8, v98
	v_fma_f16 v122, v53, 0xb5ac, -v121
	v_add_f16_e32 v80, v80, v106
	v_fmamk_f16 v106, v64, 0x3770, v120
	v_add_f16_e32 v111, v111, v119
	v_fma_f16 v119, v48, 0x2fb7, -v95
	v_mul_f16_e32 v99, 0x3a95, v99
	v_mul_f16_e32 v104, 0x3b15, v43
	v_add_f16_e32 v106, v80, v106
	v_add_f16_e32 v80, v109, v122
	;; [unrolled: 1-line block ×3, first 2 shown]
	v_fma_f16 v119, v50, 0xbbc4, -v98
	v_mul_f16_e32 v109, 0x2fb7, v34
	v_mul_f16_e32 v122, 0xbbc4, v37
	;; [unrolled: 1-line block ×3, first 2 shown]
	v_sub_f16_e32 v47, v104, v47
	v_add_f16_e32 v111, v111, v119
	v_fma_f16 v119, v53, 0x388b, -v99
	v_add_f16_e32 v82, v82, v109
	v_mul_f16_e32 v109, 0x2fb7, v43
	v_add_f16_e32 v83, v83, v122
	v_add_f16_e32 v66, v66, v105
	;; [unrolled: 1-line block ×3, first 2 shown]
	v_mul_f16_e32 v119, 0xbbc4, v40
	v_add_f16_e32 v82, v7, v82
	v_sub_f16_e32 v81, v109, v81
	v_mul_f16_e32 v109, 0xb5ac, v38
	v_add_f16_sdwa v47, v7, v47 dst_sel:DWORD dst_unused:UNUSED_PAD src0_sel:WORD_1 src1_sel:DWORD
	v_sub_f16_e32 v96, v119, v96
	v_mul_f16_e32 v119, 0xb5ac, v46
	v_add_f16_e32 v82, v82, v83
	v_add_f16_e32 v84, v84, v109
	v_mul_f16_e32 v83, 0x3b15, v48
	v_mul_f16_e32 v105, 0xb5ac, v48
	v_sub_f16_e32 v97, v119, v97
	v_mul_f16_e32 v119, 0x3b15, v39
	v_add_f16_e32 v82, v82, v84
	v_mul_f16_e32 v84, 0xb9fd, v53
	v_sub_f16_e32 v83, v83, v100
	v_mul_f16_e32 v100, 0x388b, v50
	v_add_f16_e32 v85, v85, v119
	v_mul_f16_e32 v119, 0x388b, v40
	v_sub_f16_e32 v84, v84, v102
	v_mul_f16_e32 v102, 0x388b, v41
	v_sub_f16_e32 v100, v100, v101
	v_add_f16_e32 v82, v82, v85
	v_mul_f16_e32 v85, 0xb5ac, v40
	v_mul_f16_e32 v101, 0xb5ac, v37
	v_add_f16_e32 v87, v87, v102
	v_mul_f16_e32 v102, 0xb9fd, v42
	v_sub_f16_e32 v49, v119, v49
	v_sub_f16_e32 v85, v85, v93
	v_mul_f16_e32 v93, 0x2fb7, v46
	v_add_f16_e32 v72, v72, v101
	v_add_f16_e32 v88, v88, v102
	v_mul_f16_e32 v102, 0xbbc4, v46
	v_add_f16_e32 v66, v7, v66
	v_add_f16_e32 v47, v47, v49
	v_sub_f16_e32 v49, v93, v67
	v_mul_f16_e32 v122, 0x388b, v43
	v_sub_f16_e32 v91, v102, v91
	v_mul_f16_e32 v102, 0xb9fd, v48
	v_add_f16_e32 v66, v66, v72
	v_mul_f16_e32 v72, 0x2fb7, v50
	v_add_f16_e32 v47, v47, v49
	v_sub_f16_e32 v49, v105, v68
	v_sub_f16_e32 v92, v102, v92
	v_mul_f16_e32 v102, 0xb9fd, v50
	v_add_f16_e32 v82, v82, v87
	v_sub_f16_e32 v72, v72, v90
	v_mul_f16_e32 v90, 0xbbc4, v53
	v_add_f16_e32 v47, v47, v49
	v_sub_f16_e32 v49, v102, v71
	v_sub_f16_e32 v77, v122, v77
	v_mul_f16_e32 v87, 0xbbc4, v38
	v_mul_f16_e32 v101, 0xb9fd, v39
	v_add_f16_e32 v82, v82, v88
	v_mul_f16_e32 v88, 0xb94e, v52
	v_add_f16_e32 v47, v47, v49
	v_sub_f16_e32 v49, v90, v74
	v_mul_f16_e32 v103, 0x3b15, v34
	v_add_f16_sdwa v77, v7, v77 dst_sel:DWORD dst_unused:UNUSED_PAD src0_sel:WORD_1 src1_sel:DWORD
	v_add_f16_e32 v75, v75, v87
	v_add_f16_e32 v76, v76, v101
	v_mul_f16_e32 v101, 0x3b15, v53
	v_add_f16_e32 v47, v47, v49
	v_pack_b32_f16 v49, v88, v56
	v_mul_f16_e32 v109, 0x388b, v37
	v_add_f16_e32 v77, v77, v85
	v_mul_f16_e32 v87, 0x2fb7, v41
	v_add_f16_e32 v66, v66, v75
	v_sub_f16_e32 v86, v101, v86
	v_mul_f16_e32 v101, 0x3770, v64
	v_add_f16_e32 v45, v45, v103
	v_pk_add_f16 v49, v108, v49 neg_lo:[0,1] neg_hi:[0,1]
	v_pk_fma_f16 v67, 0xbbc4, v34, v56 op_sel:[0,0,1] op_sel_hi:[0,1,0]
	v_mul_f16_e32 v122, 0x2fb7, v38
	v_add_f16_e32 v77, v77, v91
	v_add_f16_e32 v66, v66, v76
	v_add_f16_e32 v79, v79, v87
	v_add_f16_e32 v45, v7, v45
	v_add_f16_e32 v44, v44, v109
	v_bfi_b32 v49, 0xffff, v49, v67
	v_pack_b32_f16 v67, v101, v59
	v_pk_add_f16 v36, v7, v36
	v_mul_f16_e32 v85, 0xb5ac, v39
	v_add_f16_e32 v77, v77, v92
	v_mul_f16_e32 v52, 0xbb7b, v52
	v_add_f16_e32 v66, v66, v79
	v_mul_f16_e32 v79, 0xbb7b, v70
	v_fmac_f16_e32 v107, 0xb9fd, v43
	v_add_f16_e32 v44, v45, v44
	v_add_f16_e32 v45, v63, v122
	v_fmac_f16_e32 v116, 0xb5ac, v43
	v_pk_add_f16 v43, v120, v67 neg_lo:[0,1] neg_hi:[0,1]
	v_pk_fma_f16 v67, 0xb5ac, v41, v59 op_sel:[0,0,1] op_sel_hi:[0,1,0]
	v_pk_add_f16 v35, v36, v35
	v_mul_f16_e32 v123, 0xb5ac, v42
	v_mul_f16_e32 v91, 0xb9fd, v41
	v_add_f16_e32 v72, v77, v72
	v_mul_f16_e32 v77, 0x3bf1, v51
	v_mul_f16_e32 v51, 0x394e, v51
	v_fmac_f16_e32 v110, 0x2fb7, v40
	v_add_f16_e32 v44, v44, v45
	v_add_f16_e32 v45, v65, v85
	v_fmac_f16_e32 v89, 0xb9fd, v40
	v_bfi_b32 v36, 0xffff, v43, v67
	v_pack_b32_f16 v40, v79, v61
	v_fma_f16 v43, v34, 0xb5ac, -v52
	v_pk_add_f16 v33, v35, v33
	v_mul_f16_e32 v92, 0xbbc4, v42
	v_mul_f16_e32 v76, 0xba95, v54
	;; [unrolled: 1-line block ×3, first 2 shown]
	v_add_f16_e32 v44, v44, v45
	v_add_f16_e32 v45, v69, v91
	v_pk_add_f16 v35, v123, v40 neg_lo:[0,1] neg_hi:[0,1]
	v_add_f16_e32 v40, v7, v43
	v_fma_f16 v43, v37, 0xb9fd, -v51
	v_pk_add_f16 v16, v33, v16
	v_mul_f16_e32 v75, 0x3b15, v42
	v_mul_f16_e32 v87, 0x33a8, v60
	;; [unrolled: 1-line block ×3, first 2 shown]
	v_add_f16_e32 v44, v44, v45
	v_add_f16_e32 v45, v73, v92
	;; [unrolled: 1-line block ×3, first 2 shown]
	v_pk_add_f16 v15, v16, v15
	v_fma_f16 v16, v38, 0x3b15, -v54
	v_add_f16_e32 v75, v78, v75
	v_fmamk_f16 v78, v34, 0xb5ac, v52
	v_mul_f16_e32 v64, 0x33a8, v64
	v_add_f16_e32 v44, v44, v45
	v_pack_b32_f16 v45, v77, v55
	v_pack_b32_f16 v65, v76, v58
	v_pk_add_f16 v14, v15, v14
	v_add_f16_e32 v15, v40, v16
	v_fma_f16 v16, v39, 0x2fb7, -v60
	v_fmamk_f16 v124, v70, 0xbb7b, v123
	v_add_f16_e32 v72, v72, v86
	v_fmamk_f16 v86, v37, 0xb9fd, v51
	v_mul_f16_e32 v70, 0x3a95, v70
	v_pk_add_f16 v45, v115, v45 neg_lo:[0,1] neg_hi:[0,1]
	v_pk_fma_f16 v68, 0x3b15, v37, v55 op_sel:[0,0,1] op_sel_hi:[0,1,0]
	v_pk_add_f16 v65, v117, v65 neg_lo:[0,1] neg_hi:[0,1]
	v_pk_fma_f16 v69, 0xb9fd, v38, v58 op_sel:[0,0,1] op_sel_hi:[0,1,0]
	v_pack_b32_f16 v71, v87, v57
	v_pk_add_f16 v13, v14, v13
	v_pack_b32_f16 v14, v78, v81
	v_add_f16_e32 v15, v15, v16
	v_fma_f16 v16, v41, 0xbbc4, -v64
	v_add_f16_e32 v66, v66, v75
	v_fmamk_f16 v75, v38, 0x3b15, v54
	v_bfi_b32 v45, 0xffff, v45, v68
	v_bfi_b32 v65, 0xffff, v65, v69
	v_pk_add_f16 v68, v118, v71 neg_lo:[0,1] neg_hi:[0,1]
	v_pk_fma_f16 v69, 0x388b, v39, v57 op_sel:[0,0,1] op_sel_hi:[0,1,0]
	v_pk_add_f16 v12, v12, v13
	v_pk_add_f16 v13, v7, v14
	v_pack_b32_f16 v14, v86, v96
	v_add_f16_e32 v15, v15, v16
	v_fma_f16 v16, v42, 0x388b, -v70
	v_pk_fma_f16 v34, 0xbbc4, v34, v56 op_sel:[0,0,1] op_sel_hi:[0,1,0] neg_lo:[0,0,1] neg_hi:[0,0,1]
	v_fmamk_f16 v104, v39, 0x2fb7, v60
	v_add_f16_sdwa v107, v7, v107 dst_sel:DWORD dst_unused:UNUSED_PAD src0_sel:WORD_1 src1_sel:DWORD
	v_bfi_b32 v68, 0xffff, v68, v69
	v_add_f16_sdwa v69, v7, v116 dst_sel:DWORD dst_unused:UNUSED_PAD src0_sel:WORD_1 src1_sel:DWORD
	v_pk_add_f16 v11, v11, v12
	v_pk_add_f16 v12, v13, v14
	v_pack_b32_f16 v13, v75, v97
	v_add_f16_e32 v14, v15, v16
	v_pk_add_f16 v15, v7, v34
	v_pk_fma_f16 v16, 0x3b15, v37, v55 op_sel:[0,0,1] op_sel_hi:[0,1,0] neg_lo:[0,0,1] neg_hi:[0,0,1]
	v_pk_add_f16 v7, v7, v49
	v_fmamk_f16 v103, v41, 0xbbc4, v64
	v_add_f16_e32 v63, v107, v110
	v_fmac_f16_e32 v112, 0x388b, v46
	v_add_f16_e32 v52, v69, v89
	v_fmac_f16_e32 v94, 0x3b15, v46
	v_pk_add_f16 v10, v10, v11
	v_pk_add_f16 v11, v12, v13
	v_pack_b32_f16 v12, v104, v83
	v_pk_add_f16 v13, v15, v16
	v_pk_fma_f16 v15, 0xb9fd, v38, v58 op_sel:[0,0,1] op_sel_hi:[0,1,0] neg_lo:[0,0,1] neg_hi:[0,0,1]
	v_pk_add_f16 v7, v7, v45
	v_fmamk_f16 v119, v42, 0x388b, v70
	v_add_f16_e32 v63, v63, v112
	v_fmac_f16_e32 v113, 0xbbc4, v48
	v_add_f16_e32 v33, v52, v94
	v_fmac_f16_e32 v95, 0x2fb7, v48
	v_pk_add_f16 v9, v9, v10
	v_pk_add_f16 v10, v11, v12
	v_pack_b32_f16 v11, v103, v100
	v_pk_add_f16 v12, v13, v15
	v_pk_fma_f16 v13, 0x388b, v39, v57 op_sel:[0,0,1] op_sel_hi:[0,1,0] neg_lo:[0,0,1] neg_hi:[0,0,1]
	v_pk_add_f16 v7, v7, v65
	v_add_f16_e32 v63, v63, v113
	v_fmac_f16_e32 v114, 0x3b15, v50
	v_pk_fma_f16 v46, 0x2fb7, v42, v61 op_sel:[0,0,1] op_sel_hi:[0,1,0]
	v_add_f16_e32 v33, v33, v95
	v_fmac_f16_e32 v98, 0xbbc4, v50
	v_pk_add_f16 v10, v10, v11
	v_pack_b32_f16 v11, v119, v84
	v_pk_add_f16 v12, v12, v13
	v_pk_add_f16 v7, v7, v68
	v_pk_fma_f16 v13, 0xb5ac, v41, v59 op_sel:[0,0,1] op_sel_hi:[0,1,0] neg_lo:[0,0,1] neg_hi:[0,0,1]
	v_add_f16_e32 v63, v63, v114
	v_fmac_f16_e32 v121, 0xb5ac, v53
	v_bfi_b32 v35, 0xffff, v35, v46
	v_add_f16_e32 v33, v33, v98
	v_fmac_f16_e32 v99, 0x388b, v53
	v_pk_add_f16 v10, v10, v11
	v_pk_add_f16 v7, v7, v36
	;; [unrolled: 1-line block ×3, first 2 shown]
	v_pk_fma_f16 v12, 0x2fb7, v42, v61 op_sel:[0,0,1] op_sel_hi:[0,1,0] neg_lo:[0,0,1] neg_hi:[0,0,1]
	v_mad_u32_u24 v15, v28, 52, 0
	v_pack_b32_f16 v16, v66, v72
	v_pack_b32_f16 v34, v44, v47
	v_add_f16_e32 v106, v106, v124
	v_add_f16_e32 v63, v63, v121
	;; [unrolled: 1-line block ×3, first 2 shown]
	v_pk_add_f16 v7, v7, v35
	v_pk_add_f16 v11, v11, v12
	ds_write2_b32 v15, v34, v16 offset0:1 offset1:2
	v_bfi_b32 v16, 0xffff, v82, v10
	v_pack_b32_f16 v34, v10, v111
	v_pk_add_f16 v13, v8, v9
	v_pack_b32_f16 v35, v106, v80
	v_alignbit_b32 v8, v7, v7, 16
	v_pack_b32_f16 v9, v63, v14
	v_alignbit_b32 v7, v11, v11, 16
	v_perm_b32 v10, v5, v33, 0x5040100
	v_perm_b32 v12, v29, v31, 0x5040100
	;; [unrolled: 1-line block ×3, first 2 shown]
	ds_write2_b32 v15, v16, v34 offset0:3 offset1:4
	ds_write2_b32 v15, v13, v35 offset1:5
	ds_write_b16 v15, v62 offset:24
	ds_write_b128 v15, v[7:10] offset:26
	ds_write_b64 v15, v[11:12] offset:42
	ds_write_b16 v15, v32 offset:50
.LBB0_13:
	s_or_b32 exec_lo, exec_lo, s0
	v_and_b32_e32 v7, 0xff, v28
	v_mov_b32_e32 v8, 9
	s_load_dwordx2 s[0:1], s[4:5], 0x0
	s_waitcnt lgkmcnt(0)
	s_barrier
	v_mul_lo_u16 v7, 0x4f, v7
	buffer_gl0_inv
	v_lshl_add_u32 v34, v28, 2, 0
	v_mov_b32_e32 v47, 0x208
	v_mov_b32_e32 v48, 2
	v_lshrrev_b16 v33, 10, v7
	v_add_nc_u32_e32 v37, 0xf00, v34
	v_add_nc_u32_e32 v36, 0x1400, v34
	;; [unrolled: 1-line block ×3, first 2 shown]
	v_mul_lo_u16 v7, v33, 13
	v_add_nc_u32_e32 v43, 0xa00, v34
	v_mul_u32_u24_sdwa v33, v33, v47 dst_sel:DWORD dst_unused:UNUSED_PAD src0_sel:WORD_0 src1_sel:DWORD
	v_sub_nc_u16 v45, v28, v7
	v_mul_u32_u24_sdwa v7, v45, v8 dst_sel:DWORD dst_unused:UNUSED_PAD src0_sel:BYTE_0 src1_sel:DWORD
	v_lshlrev_b32_sdwa v45, v48, v45 dst_sel:DWORD dst_unused:UNUSED_PAD src0_sel:DWORD src1_sel:BYTE_0
	v_lshlrev_b32_e32 v15, 2, v7
	v_add3_u32 v57, 0, v33, v45
	s_clause 0x2
	global_load_dwordx4 v[7:10], v15, s[12:13]
	global_load_dwordx4 v[11:14], v15, s[12:13] offset:16
	global_load_dword v46, v15, s[12:13] offset:32
	ds_read2_b32 v[15:16], v34 offset1:169
	ds_read2_b32 v[37:38], v37 offset0:54 offset1:223
	ds_read2_b32 v[39:40], v36 offset0:72 offset1:241
	;; [unrolled: 1-line block ×4, first 2 shown]
	s_waitcnt vmcnt(0) lgkmcnt(0)
	s_barrier
	buffer_gl0_inv
	v_lshrrev_b32_e32 v51, 16, v39
	v_lshrrev_b32_e32 v47, 16, v16
	;; [unrolled: 1-line block ×10, first 2 shown]
	v_mul_f16_sdwa v45, v7, v47 dst_sel:DWORD dst_unused:UNUSED_PAD src0_sel:WORD_1 src1_sel:DWORD
	v_mul_f16_sdwa v33, v7, v16 dst_sel:DWORD dst_unused:UNUSED_PAD src0_sel:WORD_1 src1_sel:DWORD
	;; [unrolled: 1-line block ×10, first 2 shown]
	v_mul_f16_sdwa v66, v48, v12 dst_sel:DWORD dst_unused:UNUSED_PAD src0_sel:DWORD src1_sel:WORD_1
	v_mul_f16_sdwa v67, v37, v12 dst_sel:DWORD dst_unused:UNUSED_PAD src0_sel:DWORD src1_sel:WORD_1
	v_mul_f16_sdwa v68, v49, v13 dst_sel:DWORD dst_unused:UNUSED_PAD src0_sel:DWORD src1_sel:WORD_1
	v_mul_f16_sdwa v69, v38, v13 dst_sel:DWORD dst_unused:UNUSED_PAD src0_sel:DWORD src1_sel:WORD_1
	v_mul_f16_sdwa v70, v51, v14 dst_sel:DWORD dst_unused:UNUSED_PAD src0_sel:DWORD src1_sel:WORD_1
	v_mul_f16_sdwa v71, v39, v14 dst_sel:DWORD dst_unused:UNUSED_PAD src0_sel:DWORD src1_sel:WORD_1
	v_mul_f16_sdwa v73, v40, v46 dst_sel:DWORD dst_unused:UNUSED_PAD src0_sel:DWORD src1_sel:WORD_1
	v_mul_f16_sdwa v72, v52, v46 dst_sel:DWORD dst_unused:UNUSED_PAD src0_sel:DWORD src1_sel:WORD_1
	v_fmac_f16_e32 v45, v7, v16
	v_fma_f16 v16, v7, v47, -v33
	v_fmac_f16_e32 v58, v8, v41
	v_fma_f16 v7, v8, v53, -v59
	;; [unrolled: 2-line block ×8, first 2 shown]
	v_fma_f16 v14, v52, v46, -v73
	v_fmac_f16_e32 v72, v40, v46
	v_add_f16_e32 v37, v62, v66
	v_add_f16_e32 v42, v58, v70
	v_sub_f16_e32 v51, v7, v9
	v_sub_f16_e32 v52, v13, v11
	v_add_f16_e32 v71, v16, v8
	v_add_f16_e32 v73, v10, v12
	;; [unrolled: 1-line block ×4, first 2 shown]
	v_sub_f16_e32 v40, v58, v62
	v_sub_f16_e32 v41, v70, v66
	;; [unrolled: 1-line block ×4, first 2 shown]
	v_add_f16_e32 v46, v50, v7
	v_add_f16_e32 v47, v9, v11
	v_sub_f16_e32 v48, v58, v70
	v_add_f16_e32 v53, v7, v13
	v_add_f16_e32 v55, v45, v60
	;; [unrolled: 1-line block ×3, first 2 shown]
	v_sub_f16_e32 v58, v8, v14
	v_sub_f16_e32 v59, v10, v12
	;; [unrolled: 1-line block ×3, first 2 shown]
	v_add_f16_e32 v65, v60, v72
	v_sub_f16_e32 v67, v64, v60
	v_sub_f16_e32 v60, v60, v72
	;; [unrolled: 1-line block ×4, first 2 shown]
	v_fma_f16 v37, -0.5, v37, v15
	v_fmac_f16_e32 v15, -0.5, v42
	v_add_f16_e32 v42, v51, v52
	v_add_f16_e32 v10, v71, v10
	v_fma_f16 v52, -0.5, v73, v16
	v_sub_f16_e32 v63, v72, v68
	v_sub_f16_e32 v74, v64, v68
	v_fmac_f16_e32 v16, -0.5, v77
	v_sub_f16_e32 v38, v7, v13
	v_sub_f16_e32 v39, v9, v11
	;; [unrolled: 1-line block ×6, first 2 shown]
	v_add_f16_e32 v33, v33, v62
	v_add_f16_e32 v40, v40, v41
	;; [unrolled: 1-line block ×4, first 2 shown]
	v_fma_f16 v43, -0.5, v47, v50
	v_fmac_f16_e32 v50, -0.5, v53
	v_add_f16_e32 v44, v55, v64
	v_fma_f16 v46, -0.5, v56, v45
	v_add_f16_e32 v10, v10, v12
	v_fmamk_f16 v12, v60, 0x3b9c, v52
	v_add_f16_e32 v47, v61, v63
	v_fmac_f16_e32 v45, -0.5, v65
	v_fmamk_f16 v63, v74, 0xbb9c, v16
	v_fmac_f16_e32 v16, 0x3b9c, v74
	v_fmac_f16_e32 v52, 0xbb9c, v60
	v_sub_f16_e32 v54, v11, v13
	v_add_f16_e32 v53, v75, v76
	v_add_f16_e32 v33, v33, v66
	;; [unrolled: 1-line block ×3, first 2 shown]
	v_fmamk_f16 v61, v49, 0xbb9c, v50
	v_fmac_f16_e32 v50, 0x3b9c, v49
	v_add_f16_e32 v11, v44, v68
	v_fmamk_f16 v44, v58, 0xbb9c, v46
	v_fmac_f16_e32 v12, 0x38b4, v74
	v_sub_f16_e32 v69, v68, v72
	v_add_f16_e32 v8, v8, v78
	v_fmamk_f16 v55, v39, 0x3b9c, v15
	v_fmac_f16_e32 v15, 0xbb9c, v39
	v_fmamk_f16 v62, v59, 0x3b9c, v45
	v_fmac_f16_e32 v45, 0xbb9c, v59
	v_fmac_f16_e32 v63, 0x38b4, v60
	;; [unrolled: 1-line block ×5, first 2 shown]
	v_add_f16_e32 v7, v7, v54
	v_fmamk_f16 v54, v38, 0xbb9c, v37
	v_fmamk_f16 v56, v48, 0x3b9c, v43
	v_add_f16_e32 v64, v33, v70
	v_fmac_f16_e32 v61, 0x38b4, v48
	v_fmac_f16_e32 v50, 0xb8b4, v48
	v_add_f16_e32 v11, v11, v72
	v_fmac_f16_e32 v44, 0xb8b4, v59
	v_fmac_f16_e32 v12, 0x34f2, v53
	;; [unrolled: 3-line block ×3, first 2 shown]
	v_fmac_f16_e32 v15, 0x38b4, v38
	v_fmac_f16_e32 v62, 0xb8b4, v58
	;; [unrolled: 1-line block ×9, first 2 shown]
	v_add_f16_e32 v9, v9, v13
	v_fmac_f16_e32 v56, 0x38b4, v49
	v_add_f16_e32 v13, v10, v14
	v_fmac_f16_e32 v61, 0x34f2, v7
	v_fmac_f16_e32 v50, 0x34f2, v7
	;; [unrolled: 1-line block ×3, first 2 shown]
	v_add_f16_e32 v7, v64, v11
	v_sub_f16_e32 v10, v64, v11
	v_mul_f16_e32 v11, 0xb8b4, v12
	v_mul_f16_e32 v48, 0x3a79, v12
	v_fmac_f16_e32 v43, 0xb8b4, v49
	v_fmac_f16_e32 v55, 0x34f2, v41
	;; [unrolled: 1-line block ×5, first 2 shown]
	v_mul_f16_e32 v38, 0xbb9c, v63
	v_mul_f16_e32 v41, 0xbb9c, v16
	;; [unrolled: 1-line block ×4, first 2 shown]
	v_fmac_f16_e32 v37, 0x38b4, v39
	v_fmac_f16_e32 v46, 0x34f2, v47
	v_mul_f16_e32 v47, 0xb8b4, v52
	v_mul_f16_e32 v52, 0xba79, v52
	v_fmac_f16_e32 v54, 0x34f2, v40
	v_fmac_f16_e32 v56, 0x34f2, v42
	;; [unrolled: 1-line block ×12, first 2 shown]
	v_add_f16_e32 v33, v9, v13
	v_add_f16_e32 v8, v54, v11
	;; [unrolled: 1-line block ×3, first 2 shown]
	v_sub_f16_e32 v42, v9, v13
	v_add_f16_e32 v13, v55, v38
	v_add_f16_e32 v14, v15, v41
	;; [unrolled: 1-line block ×6, first 2 shown]
	v_sub_f16_e32 v11, v54, v11
	v_sub_f16_e32 v12, v55, v38
	;; [unrolled: 1-line block ×8, first 2 shown]
	v_pack_b32_f16 v53, v7, v33
	v_pack_b32_f16 v37, v8, v44
	;; [unrolled: 1-line block ×10, first 2 shown]
	ds_write2_b32 v57, v53, v37 offset1:13
	ds_write2_b32 v57, v38, v41 offset0:26 offset1:39
	ds_write2_b32 v57, v43, v58 offset0:52 offset1:65
	;; [unrolled: 1-line block ×4, first 2 shown]
	s_waitcnt lgkmcnt(0)
	s_barrier
	buffer_gl0_inv
	s_and_saveexec_b32 s4, vcc_lo
	s_cbranch_execnz .LBB0_16
; %bb.14:
	s_or_b32 exec_lo, exec_lo, s4
	s_and_saveexec_b32 s4, s14
	s_cbranch_execnz .LBB0_17
.LBB0_15:
	s_endpgm
.LBB0_16:
	v_add_nc_u32_e32 v9, 0x1000, v34
	v_add_nc_u32_e32 v10, 0x800, v34
	;; [unrolled: 1-line block ×3, first 2 shown]
	ds_read2_b32 v[7:8], v34 offset1:130
	ds_read2_b32 v[5:6], v36 offset0:20 offset1:150
	ds_read_b32 v29, v34 offset:6240
	ds_read2_b32 v[13:14], v35 offset0:4 offset1:134
	ds_read2_b32 v[15:16], v9 offset0:16 offset1:146
	;; [unrolled: 1-line block ×4, first 2 shown]
	s_waitcnt lgkmcnt(6)
	v_lshrrev_b32_e32 v33, 16, v7
	s_waitcnt lgkmcnt(5)
	v_lshrrev_b32_e32 v30, 16, v5
	v_lshrrev_b32_e32 v31, 16, v6
	s_waitcnt lgkmcnt(4)
	v_lshrrev_b32_e32 v32, 16, v29
	;; [unrolled: 3-line block ×6, first 2 shown]
	v_lshrrev_b32_e32 v49, 16, v12
	s_or_b32 exec_lo, exec_lo, s4
	s_and_saveexec_b32 s4, s14
	s_cbranch_execz .LBB0_15
.LBB0_17:
	v_mul_u32_u24_e32 v34, 12, v28
	v_mul_lo_u32 v35, s0, v4
	v_lshlrev_b64 v[1:2], 2, v[1:2]
	v_lshlrev_b32_e32 v34, 2, v34
	s_clause 0x2
	global_load_dwordx4 v[50:53], v34, s[12:13] offset:500
	global_load_dwordx4 v[54:57], v34, s[12:13] offset:468
	;; [unrolled: 1-line block ×3, first 2 shown]
	v_mul_lo_u32 v34, s1, v3
	v_mad_u64_u32 v[3:4], null, s0, v3, 0
	v_add3_u32 v4, v4, v35, v34
	v_lshlrev_b64 v[3:4], 2, v[3:4]
	s_waitcnt vmcnt(2)
	v_mul_f16_sdwa v62, v29, v53 dst_sel:DWORD dst_unused:UNUSED_PAD src0_sel:DWORD src1_sel:WORD_1
	s_waitcnt vmcnt(1)
	v_mul_f16_sdwa v63, v8, v54 dst_sel:DWORD dst_unused:UNUSED_PAD src0_sel:DWORD src1_sel:WORD_1
	v_mul_f16_sdwa v64, v44, v54 dst_sel:DWORD dst_unused:UNUSED_PAD src0_sel:DWORD src1_sel:WORD_1
	;; [unrolled: 1-line block ×10, first 2 shown]
	v_fma_f16 v32, v32, v53, -v62
	v_fma_f16 v44, v44, v54, -v63
	v_fmac_f16_e32 v64, v8, v54
	v_mul_f16_sdwa v68, v5, v51 dst_sel:DWORD dst_unused:UNUSED_PAD src0_sel:DWORD src1_sel:WORD_1
	v_mul_f16_sdwa v36, v30, v51 dst_sel:DWORD dst_unused:UNUSED_PAD src0_sel:DWORD src1_sel:WORD_1
	;; [unrolled: 1-line block ×5, first 2 shown]
	s_waitcnt vmcnt(0)
	v_mul_f16_sdwa v74, v15, v61 dst_sel:DWORD dst_unused:UNUSED_PAD src0_sel:DWORD src1_sel:WORD_1
	v_mul_f16_sdwa v75, v10, v58 dst_sel:DWORD dst_unused:UNUSED_PAD src0_sel:DWORD src1_sel:WORD_1
	v_mul_f16_sdwa v38, v45, v61 dst_sel:DWORD dst_unused:UNUSED_PAD src0_sel:DWORD src1_sel:WORD_1
	v_mul_f16_sdwa v77, v12, v60 dst_sel:DWORD dst_unused:UNUSED_PAD src0_sel:DWORD src1_sel:WORD_1
	v_fmac_f16_e32 v34, v29, v53
	v_fma_f16 v31, v31, v52, -v65
	v_fma_f16 v53, v40, v55, -v66
	v_fmac_f16_e32 v67, v13, v55
	v_fmac_f16_e32 v35, v6, v52
	v_fma_f16 v52, v39, v56, -v69
	v_fmac_f16_e32 v70, v14, v56
	v_fma_f16 v39, v48, v50, -v71
	v_add_f16_e32 v48, v32, v44
	v_sub_f16_e32 v56, v44, v32
	v_add_f16_e32 v62, v7, v64
	v_add_f16_e32 v44, v33, v44
	v_mul_f16_sdwa v76, v42, v58 dst_sel:DWORD dst_unused:UNUSED_PAD src0_sel:DWORD src1_sel:WORD_1
	v_mul_f16_sdwa v41, v49, v60 dst_sel:DWORD dst_unused:UNUSED_PAD src0_sel:DWORD src1_sel:WORD_1
	v_fma_f16 v30, v30, v51, -v68
	v_fmac_f16_e32 v36, v5, v51
	v_fma_f16 v46, v46, v57, -v72
	v_fmac_f16_e32 v73, v9, v57
	v_fma_f16 v40, v45, v61, -v74
	v_fma_f16 v45, v42, v58, -v75
	v_fmac_f16_e32 v38, v15, v61
	v_fma_f16 v42, v49, v60, -v77
	v_sub_f16_e32 v29, v64, v34
	v_add_f16_e32 v49, v31, v53
	v_add_f16_e32 v15, v34, v64
	v_sub_f16_e32 v57, v53, v31
	v_mul_f16_e32 v63, 0xbbc4, v48
	v_mul_f16_e32 v71, 0xb3a8, v56
	;; [unrolled: 1-line block ×4, first 2 shown]
	v_add_f16_e32 v62, v62, v67
	v_add_f16_e32 v44, v44, v53
	v_mul_f16_sdwa v78, v11, v59 dst_sel:DWORD dst_unused:UNUSED_PAD src0_sel:DWORD src1_sel:WORD_1
	v_mul_f16_sdwa v43, v47, v59 dst_sel:DWORD dst_unused:UNUSED_PAD src0_sel:DWORD src1_sel:WORD_1
	v_fmac_f16_e32 v37, v16, v50
	v_fmac_f16_e32 v76, v10, v58
	v_sub_f16_e32 v16, v67, v35
	v_add_f16_e32 v50, v30, v52
	v_sub_f16_e32 v10, v70, v36
	v_add_f16_e32 v14, v35, v67
	v_add_f16_e32 v13, v36, v70
	v_mul_f16_e32 v64, 0x3b15, v49
	v_mul_f16_e32 v72, 0x3770, v57
	;; [unrolled: 1-line block ×8, first 2 shown]
	v_fmamk_f16 v53, v29, 0x33a8, v63
	v_fmamk_f16 v114, v15, 0xbbc4, v71
	v_fmamk_f16 v118, v15, 0xb9fd, v85
	v_add_f16_e32 v62, v62, v70
	v_fmamk_f16 v70, v15, 0xb5ac, v97
	v_add_f16_e32 v44, v44, v52
	v_fma_f16 v85, v15, 0xb9fd, -v85
	v_fma_f16 v47, v47, v59, -v78
	v_fmac_f16_e32 v43, v11, v59
	v_add_f16_e32 v51, v39, v46
	v_sub_f16_e32 v58, v52, v30
	v_sub_f16_e32 v59, v46, v39
	v_mul_f16_e32 v65, 0xb9fd, v50
	v_mul_f16_e32 v80, 0x2fb7, v49
	;; [unrolled: 1-line block ×7, first 2 shown]
	v_fmamk_f16 v67, v16, 0xb770, v64
	v_fmamk_f16 v115, v14, 0x3b15, v72
	;; [unrolled: 1-line block ×7, first 2 shown]
	v_add_f16_e32 v53, v33, v53
	v_add_f16_e32 v44, v44, v46
	v_fmamk_f16 v46, v15, 0x2fb7, v108
	v_add_f16_e32 v114, v7, v114
	v_add_f16_e32 v70, v7, v70
	v_fmac_f16_e32 v91, 0xbb7b, v29
	v_fma_f16 v86, v14, 0x2fb7, -v86
	v_fma_f16 v97, v15, 0xb5ac, -v97
	v_add_f16_e32 v85, v7, v85
	v_fmac_f16_e32 v41, v12, v60
	v_sub_f16_e32 v9, v73, v37
	v_add_f16_e32 v12, v37, v73
	v_mul_f16_e32 v74, 0xb94e, v58
	v_mul_f16_e32 v81, 0x388b, v50
	;; [unrolled: 1-line block ×7, first 2 shown]
	v_fmamk_f16 v117, v16, 0xbbf1, v80
	v_fmamk_f16 v121, v16, 0xb94e, v92
	v_add_f16_e32 v62, v62, v73
	v_fmamk_f16 v73, v16, 0x33a8, v104
	v_add_f16_e32 v116, v33, v116
	v_add_f16_e32 v53, v53, v67
	v_fmamk_f16 v67, v14, 0xbbc4, v109
	v_add_f16_e32 v114, v114, v115
	v_fmamk_f16 v115, v29, 0x3a95, v110
	v_add_f16_e32 v52, v33, v52
	v_add_f16_e32 v46, v7, v46
	;; [unrolled: 1-line block ×3, first 2 shown]
	v_fmamk_f16 v122, v29, 0x3770, v48
	v_fmac_f16_e32 v63, 0xb3a8, v29
	v_fmac_f16_e32 v92, 0x394e, v16
	v_add_f16_e32 v91, v33, v91
	v_fma_f16 v98, v14, 0xb9fd, -v98
	v_add_f16_e32 v97, v7, v97
	v_add_f16_e32 v85, v85, v86
	v_fmamk_f16 v86, v10, 0x394e, v65
	v_mul_f16_e32 v75, 0x3a95, v59
	v_mul_f16_e32 v93, 0x3b15, v50
	v_mul_f16_e32 v99, 0x3770, v58
	v_mul_f16_e32 v113, 0xbb7b, v57
	v_mul_f16_e32 v57, 0xba95, v57
	v_add_f16_e32 v116, v116, v117
	v_fmamk_f16 v117, v16, 0x3b7b, v111
	v_add_f16_e32 v120, v33, v120
	v_add_f16_e32 v52, v52, v73
	v_fmamk_f16 v73, v16, 0x3a95, v49
	v_add_f16_e32 v115, v33, v115
	;; [unrolled: 3-line block ×3, first 2 shown]
	v_add_f16_e32 v62, v62, v76
	v_fmac_f16_e32 v64, 0x3770, v16
	v_fmac_f16_e32 v79, 0xb94e, v29
	v_add_f16_e32 v63, v33, v63
	v_add_f16_e32 v91, v91, v92
	v_fmamk_f16 v92, v13, 0xb9fd, v74
	v_add_f16_e32 v97, v97, v98
	v_fmamk_f16 v98, v10, 0x3a95, v81
	;; [unrolled: 2-line block ×3, first 2 shown]
	v_fma_f16 v87, v13, 0x388b, -v87
	v_sub_f16_e32 v5, v43, v41
	v_add_f16_e32 v6, v41, v43
	v_mul_f16_e32 v82, 0xbbc4, v51
	v_mul_f16_e32 v94, 0x2fb7, v51
	v_add_f16_e32 v120, v120, v121
	v_add_f16_e32 v115, v115, v117
	v_fmamk_f16 v117, v14, 0x388b, v57
	v_add_f16_e32 v67, v7, v67
	v_add_f16_e32 v73, v122, v73
	v_mul_f16_e32 v122, 0x3b7b, v58
	v_add_f16_e32 v44, v44, v45
	v_fma_f16 v71, v15, 0xbbc4, -v71
	v_fmac_f16_e32 v80, 0x3bf1, v16
	v_add_f16_e32 v79, v33, v79
	v_add_f16_e32 v63, v63, v64
	v_mul_f16_e32 v64, 0xbbc4, v50
	v_add_f16_e32 v92, v114, v92
	v_fmamk_f16 v114, v10, 0xb770, v93
	v_add_f16_e32 v98, v116, v98
	v_fmamk_f16 v116, v13, 0x3b15, v99
	v_add_f16_e32 v43, v62, v43
	v_fma_f16 v99, v13, 0x3b15, -v99
	v_add_f16_e32 v85, v85, v87
	v_fmamk_f16 v87, v12, 0x388b, v75
	v_mul_f16_e32 v100, 0xbbf1, v59
	v_mul_f16_e32 v105, 0xb5ac, v50
	v_add_f16_e32 v67, v67, v117
	v_mul_f16_e32 v117, 0x3770, v59
	v_fma_f16 v72, v14, 0x3b15, -v72
	v_add_f16_e32 v71, v7, v71
	v_add_f16_e32 v79, v79, v80
	v_mul_f16_e32 v80, 0xb3a8, v58
	v_mul_f16_e32 v50, 0x2fb7, v50
	;; [unrolled: 1-line block ×3, first 2 shown]
	v_add_f16_e32 v114, v120, v114
	v_fmamk_f16 v120, v13, 0xb5ac, v122
	v_add_f16_e32 v70, v70, v116
	v_fmamk_f16 v116, v10, 0x33a8, v64
	v_add_f16_e32 v44, v44, v47
	v_add_f16_e32 v97, v97, v99
	v_fmamk_f16 v99, v9, 0xb3a8, v82
	v_add_f16_e32 v87, v92, v87
	v_fmamk_f16 v92, v9, 0x3bf1, v94
	v_add_f16_e32 v41, v41, v43
	v_add_f16_e32 v54, v40, v45
	v_sub_f16_e32 v8, v76, v38
	v_add_f16_e32 v55, v42, v47
	v_add_f16_e32 v11, v38, v76
	v_sub_f16_e32 v61, v47, v42
	v_mul_f16_e32 v66, 0x388b, v51
	v_mul_f16_e32 v106, 0x3b15, v51
	v_add_f16_e32 v71, v71, v72
	v_mul_f16_e32 v72, 0xb9fd, v51
	v_add_f16_e32 v46, v46, v120
	v_fmamk_f16 v120, v10, 0x3bf1, v50
	v_add_f16_e32 v115, v115, v116
	v_fmamk_f16 v116, v13, 0x2fb7, v58
	v_mul_f16_e32 v51, 0xb5ac, v51
	v_fmac_f16_e32 v65, 0xb94e, v10
	v_fmac_f16_e32 v81, 0xba95, v10
	v_add_f16_e32 v98, v98, v99
	v_fmamk_f16 v99, v12, 0x2fb7, v100
	v_add_f16_e32 v92, v114, v92
	v_fmamk_f16 v114, v12, 0x3b15, v117
	v_add_f16_e32 v42, v42, v44
	v_add_f16_e32 v38, v38, v41
	v_sub_f16_e32 v60, v45, v40
	v_mul_f16_e32 v68, 0xb5ac, v54
	v_mul_f16_e32 v83, 0x3b15, v54
	;; [unrolled: 1-line block ×3, first 2 shown]
	v_add_f16_e32 v73, v73, v120
	v_add_f16_e32 v67, v67, v116
	v_mul_f16_e32 v116, 0x394e, v59
	v_mul_f16_e32 v59, 0xbb7b, v59
	v_fma_f16 v74, v13, 0xb9fd, -v74
	v_add_f16_e32 v63, v63, v65
	v_fmamk_f16 v65, v9, 0xba95, v66
	v_add_f16_e32 v79, v79, v81
	v_add_f16_e32 v70, v70, v99
	v_fmamk_f16 v99, v9, 0xb94e, v72
	v_add_f16_e32 v46, v46, v114
	v_fmamk_f16 v114, v9, 0x3b7b, v51
	v_fmac_f16_e32 v66, 0x3a95, v9
	v_fmac_f16_e32 v82, 0x33a8, v9
	v_add_f16_e32 v40, v40, v42
	v_add_f16_e32 v37, v37, v38
	v_mul_f16_e32 v84, 0xb5ac, v55
	v_mul_f16_e32 v89, 0x3770, v60
	v_add_f16_e32 v71, v71, v74
	v_fmamk_f16 v74, v8, 0x3b7b, v68
	v_add_f16_e32 v53, v53, v65
	v_fmamk_f16 v65, v12, 0xbbc4, v88
	;; [unrolled: 2-line block ×4, first 2 shown]
	v_add_f16_e32 v63, v63, v66
	v_fma_f16 v88, v12, 0xbbc4, -v88
	v_add_f16_e32 v79, v79, v82
	v_fmac_f16_e32 v68, 0xbb7b, v8
	v_fmac_f16_e32 v83, 0x3770, v8
	v_add_f16_e32 v38, v39, v40
	v_add_f16_e32 v36, v36, v37
	v_mul_f16_e32 v90, 0xbb7b, v61
	v_add_f16_e32 v118, v7, v118
	v_add_f16_e32 v67, v67, v115
	v_fmamk_f16 v115, v5, 0x3b7b, v84
	v_fmamk_f16 v43, v11, 0x3b15, v89
	v_add_f16_e32 v85, v85, v88
	v_fmac_f16_e32 v84, 0xbb7b, v5
	v_fma_f16 v89, v11, 0x3b15, -v89
	v_fma_f16 v108, v15, 0x2fb7, -v108
	v_add_f16_e32 v41, v63, v68
	v_add_f16_e32 v63, v79, v83
	;; [unrolled: 1-line block ×5, first 2 shown]
	v_fmamk_f16 v119, v15, 0x388b, v112
	v_fmamk_f16 v44, v6, 0xb5ac, v90
	v_fma_f16 v90, v6, 0xb5ac, -v90
	v_add_f16_e32 v68, v85, v89
	v_add_f16_e32 v30, v31, v30
	v_add_f16_e32 v31, v63, v84
	v_add_f16_e32 v34, v34, v35
	v_add_f16_e32 v35, v7, v108
	v_fma_f16 v63, v14, 0xbbc4, -v109
	v_fmac_f16_e32 v110, 0xba95, v29
	v_fmamk_f16 v121, v14, 0xb5ac, v113
	v_add_f16_e32 v119, v7, v119
	v_add_f16_e32 v86, v118, v86
	v_fmamk_f16 v118, v10, 0xbb7b, v105
	v_add_f16_e32 v36, v68, v90
	v_add_f16_e32 v35, v35, v63
	v_fma_f16 v63, v13, 0xb5ac, -v122
	v_add_f16_e32 v68, v33, v110
	v_fmac_f16_e32 v111, 0xbb7b, v16
	v_mul_f16_e32 v77, 0xbb7b, v60
	v_add_f16_e32 v119, v119, v121
	v_mul_f16_e32 v76, 0xba95, v60
	v_add_f16_e32 v52, v52, v118
	v_fmamk_f16 v118, v13, 0xbbc4, v80
	v_fmac_f16_e32 v93, 0x3770, v10
	v_add_f16_e32 v35, v35, v63
	v_fma_f16 v63, v12, 0x3b15, -v117
	v_add_f16_e32 v68, v68, v111
	v_fmac_f16_e32 v64, 0xb3a8, v10
	v_mul_f16_e32 v45, 0xb94e, v61
	v_add_f16_e32 v118, v119, v118
	v_mul_f16_e32 v119, 0x2fb7, v54
	v_add_f16_e32 v91, v91, v93
	v_fmamk_f16 v93, v11, 0xb5ac, v77
	v_add_f16_e32 v35, v35, v63
	v_fma_f16 v63, v11, 0x388b, -v76
	v_add_f16_e32 v64, v68, v64
	v_fmac_f16_e32 v72, 0x394e, v9
	v_fma_f16 v68, v15, 0x388b, -v112
	v_fma_f16 v15, v15, 0x3b15, -v56
	v_add_f16_e32 v87, v87, v93
	v_fmamk_f16 v93, v6, 0xb9fd, v45
	v_add_f16_e32 v98, v98, v114
	v_fmamk_f16 v114, v8, 0xbbf1, v119
	v_add_f16_e32 v35, v35, v63
	v_fma_f16 v45, v6, 0xb9fd, -v45
	v_add_f16_e32 v63, v64, v72
	v_fmac_f16_e32 v119, 0x3bf1, v8
	v_add_f16_e32 v64, v7, v68
	v_fma_f16 v68, v14, 0xb5ac, -v113
	v_mul_f16_e32 v107, 0x388b, v54
	v_add_f16_e32 v65, v86, v65
	v_fmamk_f16 v86, v9, 0xb770, v106
	v_fmac_f16_e32 v94, 0xbbf1, v9
	v_fmac_f16_e32 v105, 0x3b7b, v10
	;; [unrolled: 1-line block ×3, first 2 shown]
	v_add_f16_e32 v7, v7, v15
	v_fma_f16 v10, v14, 0x388b, -v57
	v_fmac_f16_e32 v103, 0xbbf1, v29
	v_fmac_f16_e32 v48, 0xb770, v29
	v_add_f16_e32 v29, v35, v45
	v_add_f16_e32 v35, v63, v119
	;; [unrolled: 1-line block ×3, first 2 shown]
	v_fma_f16 v63, v13, 0xbbc4, -v80
	v_mul_f16_e32 v95, 0xbbc4, v54
	v_mul_f16_e32 v54, 0xb9fd, v54
	v_add_f16_e32 v52, v52, v86
	v_add_f16_e32 v91, v91, v94
	v_fmamk_f16 v94, v8, 0x3a95, v107
	v_add_f16_e32 v7, v7, v10
	v_fma_f16 v13, v13, 0x2fb7, -v58
	v_fmac_f16_e32 v106, 0x3770, v9
	v_fmac_f16_e32 v51, 0xbb7b, v9
	v_mad_u64_u32 v[9:10], null, s2, v28, 0
	v_mul_f16_e32 v62, 0x3bf1, v60
	v_fmac_f16_e32 v104, 0xb3a8, v16
	v_fmac_f16_e32 v49, 0xba95, v16
	v_add_f16_e32 v16, v45, v63
	v_fma_f16 v45, v12, 0xb9fd, -v116
	v_mul_f16_e32 v69, 0x2fb7, v55
	v_mul_f16_e32 v96, 0x388b, v55
	;; [unrolled: 1-line block ×7, first 2 shown]
	v_fmamk_f16 v86, v12, 0xb9fd, v116
	v_fma_f16 v75, v12, 0x388b, -v75
	v_fmamk_f16 v66, v8, 0xb3a8, v95
	v_fma_f16 v100, v12, 0x2fb7, -v100
	v_add_f16_e32 v53, v53, v74
	v_fmamk_f16 v74, v11, 0x388b, v76
	v_add_f16_e32 v52, v52, v94
	v_fmamk_f16 v94, v8, 0x394e, v54
	v_fmac_f16_e32 v95, 0x33a8, v8
	v_fmac_f16_e32 v107, 0xba95, v8
	;; [unrolled: 1-line block ×3, first 2 shown]
	v_add_f16_e32 v8, v7, v13
	v_fma_f16 v12, v12, 0xb5ac, -v59
	v_mul_f16_e32 v47, 0x3770, v61
	v_add_f16_e32 v103, v33, v103
	v_add_f16_e32 v33, v33, v48
	;; [unrolled: 1-line block ×3, first 2 shown]
	v_fma_f16 v15, v11, 0x2fb7, -v62
	v_fmamk_f16 v81, v5, 0xbbf1, v69
	v_add_f16_e32 v71, v71, v75
	v_fmamk_f16 v75, v5, 0xba95, v96
	v_fmamk_f16 v82, v11, 0xbbc4, v101
	v_add_f16_e32 v97, v97, v100
	v_fmamk_f16 v100, v5, 0x394e, v121
	v_add_f16_e32 v43, v65, v43
	;; [unrolled: 2-line block ×5, first 2 shown]
	v_fmamk_f16 v114, v11, 0xb9fd, v60
	v_fmac_f16_e32 v69, 0x3bf1, v5
	v_fma_f16 v77, v11, 0xb5ac, -v77
	v_fmac_f16_e32 v96, 0x3a95, v5
	v_fma_f16 v101, v11, 0xbbc4, -v101
	v_fmac_f16_e32 v121, 0xb94e, v5
	v_fmac_f16_e32 v120, 0x3770, v5
	v_mov_b32_e32 v7, v10
	v_fmac_f16_e32 v55, 0xb3a8, v5
	v_add_f16_e32 v5, v8, v12
	v_fma_f16 v10, v11, 0xb9fd, -v60
	v_mad_u64_u32 v[11:12], null, s2, v27, 0
	v_add_f16_e32 v33, v33, v49
	v_add_f16_e32 v14, v14, v15
	v_fma_f16 v13, v6, 0x3b15, -v47
	v_mad_u64_u32 v[7:8], null, s3, v28, v[7:8]
	v_add_f16_e32 v16, v33, v50
	v_mul_f16_e32 v78, 0x3bf1, v61
	v_add_f16_e32 v33, v14, v13
	v_add_f16_e32 v13, v5, v10
	v_mov_b32_e32 v5, v12
	v_mul_f16_e32 v102, 0x3a95, v61
	v_mul_f16_e32 v61, 0xb3a8, v61
	v_add_f16_e32 v86, v118, v86
	v_add_co_u32 v8, vcc_lo, s10, v3
	v_mov_b32_e32 v10, v7
	v_add_co_ci_u32_e32 v12, vcc_lo, s11, v4, vcc_lo
	v_mad_u64_u32 v[3:4], null, s3, v27, v[5:6]
	v_add_f16_e32 v86, v86, v92
	v_fmamk_f16 v92, v6, 0xbbc4, v61
	v_add_f16_e32 v67, v67, v114
	v_lshlrev_b64 v[4:5], 2, v[9:10]
	v_fmamk_f16 v118, v6, 0x2fb7, v78
	v_fmamk_f16 v88, v6, 0x388b, v102
	v_add_f16_e32 v70, v70, v82
	v_fmamk_f16 v82, v6, 0x3b15, v47
	v_fma_f16 v78, v6, 0x2fb7, -v78
	v_add_f16_e32 v37, v67, v92
	v_fma_f16 v67, v6, 0x388b, -v102
	v_fma_f16 v14, v6, 0xbbc4, -v61
	v_mad_u64_u32 v[6:7], null, s2, v26, 0
	v_add_co_u32 v27, vcc_lo, v8, v1
	v_add_co_ci_u32_e32 v45, vcc_lo, v12, v2, vcc_lo
	v_mov_b32_e32 v12, v3
	v_add_co_u32 v1, vcc_lo, v27, v4
	v_add_f16_e32 v16, v16, v51
	v_add_f16_e32 v73, v73, v94
	v_add_co_ci_u32_e32 v2, vcc_lo, v45, v5, vcc_lo
	v_lshlrev_b64 v[4:5], 2, v[11:12]
	v_mov_b32_e32 v3, v7
	v_mad_u64_u32 v[8:9], null, s2, v25, 0
	v_add_f16_e32 v30, v32, v30
	v_add_f16_e32 v15, v16, v54
	;; [unrolled: 1-line block ×4, first 2 shown]
	v_mad_u64_u32 v[10:11], null, s3, v26, v[3:4]
	v_add_co_u32 v3, vcc_lo, v27, v4
	v_add_f16_e32 v28, v35, v120
	v_add_f16_e32 v35, v15, v55
	v_pack_b32_f16 v15, v34, v30
	v_add_co_ci_u32_e32 v4, vcc_lo, v45, v5, vcc_lo
	v_mov_b32_e32 v5, v9
	v_mad_u64_u32 v[11:12], null, s2, v24, 0
	v_pack_b32_f16 v16, v37, v65
	v_mov_b32_e32 v7, v10
	v_mad_u64_u32 v[9:10], null, s3, v25, v[5:6]
	global_store_dword v[1:2], v15, off
	global_store_dword v[3:4], v16, off
	v_mad_u64_u32 v[4:5], null, s2, v23, 0
	v_mov_b32_e32 v3, v12
	v_lshlrev_b64 v[1:2], 2, v[6:7]
	v_add_f16_e32 v25, v13, v14
	v_mad_u64_u32 v[13:14], null, s2, v21, 0
	v_add_f16_e32 v40, v86, v82
	v_mad_u64_u32 v[6:7], null, s3, v24, v[3:4]
	v_mov_b32_e32 v3, v5
	v_lshlrev_b64 v[7:8], 2, v[8:9]
	v_mad_u64_u32 v[9:10], null, s2, v22, 0
	v_add_co_u32 v1, vcc_lo, v27, v1
	v_mov_b32_e32 v12, v6
	v_mad_u64_u32 v[5:6], null, s3, v23, v[3:4]
	v_add_co_ci_u32_e32 v2, vcc_lo, v45, v2, vcc_lo
	v_lshlrev_b64 v[11:12], 2, v[11:12]
	v_add_co_u32 v6, vcc_lo, v27, v7
	v_mov_b32_e32 v3, v10
	v_lshlrev_b64 v[4:5], 2, v[4:5]
	v_add_co_ci_u32_e32 v7, vcc_lo, v45, v8, vcc_lo
	v_add_co_u32 v11, vcc_lo, v27, v11
	v_add_co_ci_u32_e32 v12, vcc_lo, v45, v12, vcc_lo
	v_mad_u64_u32 v[15:16], null, s3, v22, v[3:4]
	v_mov_b32_e32 v3, v14
	v_add_co_u32 v4, vcc_lo, v27, v4
	v_add_f16_e32 v52, v52, v100
	v_add_f16_e32 v46, v46, v93
	;; [unrolled: 1-line block ×7, first 2 shown]
	v_mad_u64_u32 v[21:22], null, s3, v21, v[3:4]
	v_pack_b32_f16 v24, v40, v39
	v_mad_u64_u32 v[22:23], null, s2, v20, 0
	v_pack_b32_f16 v8, v46, v52
	v_pack_b32_f16 v26, v66, v44
	v_add_co_ci_u32_e32 v5, vcc_lo, v45, v5, vcc_lo
	v_pack_b32_f16 v14, v43, v81
	global_store_dword v[1:2], v24, off
	global_store_dword v[6:7], v8, off
	;; [unrolled: 1-line block ×4, first 2 shown]
	v_mad_u64_u32 v[4:5], null, s2, v19, 0
	v_mov_b32_e32 v10, v15
	v_mov_b32_e32 v3, v23
	;; [unrolled: 1-line block ×3, first 2 shown]
	v_add_f16_e32 v42, v71, v77
	v_add_f16_e32 v79, v87, v118
	v_lshlrev_b64 v[1:2], 2, v[9:10]
	v_mad_u64_u32 v[8:9], null, s3, v20, v[3:4]
	v_mad_u64_u32 v[9:10], null, s2, v18, 0
	v_lshlrev_b64 v[6:7], 2, v[13:14]
	v_mov_b32_e32 v3, v5
	v_add_f16_e32 v38, v41, v69
	v_add_f16_e32 v41, v42, v78
	v_add_co_u32 v1, vcc_lo, v27, v1
	v_add_co_ci_u32_e32 v2, vcc_lo, v45, v2, vcc_lo
	v_mad_u64_u32 v[11:12], null, s3, v19, v[3:4]
	v_add_co_u32 v5, vcc_lo, v27, v6
	v_mov_b32_e32 v3, v10
	v_mad_u64_u32 v[12:13], null, s2, v17, 0
	v_pack_b32_f16 v15, v79, v53
	v_add_co_ci_u32_e32 v6, vcc_lo, v45, v7, vcc_lo
	v_pack_b32_f16 v14, v41, v38
	v_mov_b32_e32 v23, v8
	v_mad_u64_u32 v[7:8], null, s3, v18, v[3:4]
	global_store_dword v[1:2], v15, off
	global_store_dword v[5:6], v14, off
	v_mad_u64_u32 v[14:15], null, s2, v0, 0
	v_mov_b32_e32 v5, v11
	v_mov_b32_e32 v3, v13
	v_add_f16_e32 v32, v103, v104
	v_mov_b32_e32 v10, v7
	v_lshlrev_b64 v[1:2], 2, v[22:23]
	v_add_f16_e32 v71, v91, v95
	v_mad_u64_u32 v[6:7], null, s3, v17, v[3:4]
	v_lshlrev_b64 v[4:5], 2, v[4:5]
	v_mov_b32_e32 v3, v15
	v_add_f16_e32 v32, v32, v105
	v_lshlrev_b64 v[7:8], 2, v[9:10]
	v_add_co_u32 v1, vcc_lo, v27, v1
	v_mad_u64_u32 v[9:10], null, s3, v0, v[3:4]
	v_add_f16_e32 v32, v32, v106
	v_mov_b32_e32 v13, v6
	v_add_co_ci_u32_e32 v2, vcc_lo, v45, v2, vcc_lo
	v_add_f16_e32 v77, v97, v101
	v_add_co_u32 v3, vcc_lo, v27, v4
	v_mov_b32_e32 v15, v9
	v_add_f16_e32 v32, v32, v107
	v_add_co_ci_u32_e32 v4, vcc_lo, v45, v5, vcc_lo
	v_lshlrev_b64 v[5:6], 2, v[12:13]
	v_add_f16_e32 v42, v71, v96
	v_add_f16_e32 v67, v77, v67
	v_add_co_u32 v7, vcc_lo, v27, v7
	v_lshlrev_b64 v[9:10], 2, v[14:15]
	v_add_f16_e32 v32, v32, v121
	v_add_co_ci_u32_e32 v8, vcc_lo, v45, v8, vcc_lo
	v_add_co_u32 v5, vcc_lo, v27, v5
	v_pack_b32_f16 v11, v36, v31
	v_pack_b32_f16 v0, v67, v42
	v_add_co_ci_u32_e32 v6, vcc_lo, v45, v6, vcc_lo
	v_pack_b32_f16 v12, v29, v32
	v_add_co_u32 v9, vcc_lo, v27, v9
	v_pack_b32_f16 v13, v33, v28
	v_add_co_ci_u32_e32 v10, vcc_lo, v45, v10, vcc_lo
	v_pack_b32_f16 v14, v25, v35
	global_store_dword v[1:2], v11, off
	global_store_dword v[3:4], v0, off
	;; [unrolled: 1-line block ×5, first 2 shown]
	s_endpgm
	.section	.rodata,"a",@progbits
	.p2align	6, 0x0
	.amdhsa_kernel fft_rtc_back_len1690_factors_13_10_13_wgs_169_tpt_169_half_op_CI_CI_sbrr_dirReg
		.amdhsa_group_segment_fixed_size 0
		.amdhsa_private_segment_fixed_size 0
		.amdhsa_kernarg_size 104
		.amdhsa_user_sgpr_count 6
		.amdhsa_user_sgpr_private_segment_buffer 1
		.amdhsa_user_sgpr_dispatch_ptr 0
		.amdhsa_user_sgpr_queue_ptr 0
		.amdhsa_user_sgpr_kernarg_segment_ptr 1
		.amdhsa_user_sgpr_dispatch_id 0
		.amdhsa_user_sgpr_flat_scratch_init 0
		.amdhsa_user_sgpr_private_segment_size 0
		.amdhsa_wavefront_size32 1
		.amdhsa_uses_dynamic_stack 0
		.amdhsa_system_sgpr_private_segment_wavefront_offset 0
		.amdhsa_system_sgpr_workgroup_id_x 1
		.amdhsa_system_sgpr_workgroup_id_y 0
		.amdhsa_system_sgpr_workgroup_id_z 0
		.amdhsa_system_sgpr_workgroup_info 0
		.amdhsa_system_vgpr_workitem_id 0
		.amdhsa_next_free_vgpr 125
		.amdhsa_next_free_sgpr 31
		.amdhsa_reserve_vcc 1
		.amdhsa_reserve_flat_scratch 0
		.amdhsa_float_round_mode_32 0
		.amdhsa_float_round_mode_16_64 0
		.amdhsa_float_denorm_mode_32 3
		.amdhsa_float_denorm_mode_16_64 3
		.amdhsa_dx10_clamp 1
		.amdhsa_ieee_mode 1
		.amdhsa_fp16_overflow 0
		.amdhsa_workgroup_processor_mode 1
		.amdhsa_memory_ordered 1
		.amdhsa_forward_progress 0
		.amdhsa_shared_vgpr_count 0
		.amdhsa_exception_fp_ieee_invalid_op 0
		.amdhsa_exception_fp_denorm_src 0
		.amdhsa_exception_fp_ieee_div_zero 0
		.amdhsa_exception_fp_ieee_overflow 0
		.amdhsa_exception_fp_ieee_underflow 0
		.amdhsa_exception_fp_ieee_inexact 0
		.amdhsa_exception_int_div_zero 0
	.end_amdhsa_kernel
	.text
.Lfunc_end0:
	.size	fft_rtc_back_len1690_factors_13_10_13_wgs_169_tpt_169_half_op_CI_CI_sbrr_dirReg, .Lfunc_end0-fft_rtc_back_len1690_factors_13_10_13_wgs_169_tpt_169_half_op_CI_CI_sbrr_dirReg
                                        ; -- End function
	.section	.AMDGPU.csdata,"",@progbits
; Kernel info:
; codeLenInByte = 11044
; NumSgprs: 33
; NumVgprs: 125
; ScratchSize: 0
; MemoryBound: 0
; FloatMode: 240
; IeeeMode: 1
; LDSByteSize: 0 bytes/workgroup (compile time only)
; SGPRBlocks: 4
; VGPRBlocks: 15
; NumSGPRsForWavesPerEU: 33
; NumVGPRsForWavesPerEU: 125
; Occupancy: 8
; WaveLimiterHint : 1
; COMPUTE_PGM_RSRC2:SCRATCH_EN: 0
; COMPUTE_PGM_RSRC2:USER_SGPR: 6
; COMPUTE_PGM_RSRC2:TRAP_HANDLER: 0
; COMPUTE_PGM_RSRC2:TGID_X_EN: 1
; COMPUTE_PGM_RSRC2:TGID_Y_EN: 0
; COMPUTE_PGM_RSRC2:TGID_Z_EN: 0
; COMPUTE_PGM_RSRC2:TIDIG_COMP_CNT: 0
	.text
	.p2alignl 6, 3214868480
	.fill 48, 4, 3214868480
	.type	__hip_cuid_e60f9cf2068a1e08,@object ; @__hip_cuid_e60f9cf2068a1e08
	.section	.bss,"aw",@nobits
	.globl	__hip_cuid_e60f9cf2068a1e08
__hip_cuid_e60f9cf2068a1e08:
	.byte	0                               ; 0x0
	.size	__hip_cuid_e60f9cf2068a1e08, 1

	.ident	"AMD clang version 19.0.0git (https://github.com/RadeonOpenCompute/llvm-project roc-6.4.0 25133 c7fe45cf4b819c5991fe208aaa96edf142730f1d)"
	.section	".note.GNU-stack","",@progbits
	.addrsig
	.addrsig_sym __hip_cuid_e60f9cf2068a1e08
	.amdgpu_metadata
---
amdhsa.kernels:
  - .args:
      - .actual_access:  read_only
        .address_space:  global
        .offset:         0
        .size:           8
        .value_kind:     global_buffer
      - .offset:         8
        .size:           8
        .value_kind:     by_value
      - .actual_access:  read_only
        .address_space:  global
        .offset:         16
        .size:           8
        .value_kind:     global_buffer
      - .actual_access:  read_only
        .address_space:  global
        .offset:         24
        .size:           8
        .value_kind:     global_buffer
      - .actual_access:  read_only
        .address_space:  global
        .offset:         32
        .size:           8
        .value_kind:     global_buffer
      - .offset:         40
        .size:           8
        .value_kind:     by_value
      - .actual_access:  read_only
        .address_space:  global
        .offset:         48
        .size:           8
        .value_kind:     global_buffer
      - .actual_access:  read_only
        .address_space:  global
        .offset:         56
        .size:           8
        .value_kind:     global_buffer
      - .offset:         64
        .size:           4
        .value_kind:     by_value
      - .actual_access:  read_only
        .address_space:  global
        .offset:         72
        .size:           8
        .value_kind:     global_buffer
      - .actual_access:  read_only
        .address_space:  global
        .offset:         80
        .size:           8
        .value_kind:     global_buffer
      - .actual_access:  read_only
        .address_space:  global
        .offset:         88
        .size:           8
        .value_kind:     global_buffer
      - .actual_access:  write_only
        .address_space:  global
        .offset:         96
        .size:           8
        .value_kind:     global_buffer
    .group_segment_fixed_size: 0
    .kernarg_segment_align: 8
    .kernarg_segment_size: 104
    .language:       OpenCL C
    .language_version:
      - 2
      - 0
    .max_flat_workgroup_size: 169
    .name:           fft_rtc_back_len1690_factors_13_10_13_wgs_169_tpt_169_half_op_CI_CI_sbrr_dirReg
    .private_segment_fixed_size: 0
    .sgpr_count:     33
    .sgpr_spill_count: 0
    .symbol:         fft_rtc_back_len1690_factors_13_10_13_wgs_169_tpt_169_half_op_CI_CI_sbrr_dirReg.kd
    .uniform_work_group_size: 1
    .uses_dynamic_stack: false
    .vgpr_count:     125
    .vgpr_spill_count: 0
    .wavefront_size: 32
    .workgroup_processor_mode: 1
amdhsa.target:   amdgcn-amd-amdhsa--gfx1030
amdhsa.version:
  - 1
  - 2
...

	.end_amdgpu_metadata
